;; amdgpu-corpus repo=ROCm/rocFFT kind=compiled arch=gfx1201 opt=O3
	.text
	.amdgcn_target "amdgcn-amd-amdhsa--gfx1201"
	.amdhsa_code_object_version 6
	.protected	bluestein_single_fwd_len1568_dim1_sp_op_CI_CI ; -- Begin function bluestein_single_fwd_len1568_dim1_sp_op_CI_CI
	.globl	bluestein_single_fwd_len1568_dim1_sp_op_CI_CI
	.p2align	8
	.type	bluestein_single_fwd_len1568_dim1_sp_op_CI_CI,@function
bluestein_single_fwd_len1568_dim1_sp_op_CI_CI: ; @bluestein_single_fwd_len1568_dim1_sp_op_CI_CI
; %bb.0:
	s_load_b128 s[8:11], s[0:1], 0x28
	v_mul_u32_u24_e32 v1, 0x125, v0
	s_mov_b32 s2, exec_lo
	v_mov_b32_e32 v37, 0
	s_delay_alu instid0(VALU_DEP_2) | instskip(NEXT) | instid1(VALU_DEP_1)
	v_lshrrev_b32_e32 v1, 16, v1
	v_add_nc_u32_e32 v36, ttmp9, v1
	s_wait_kmcnt 0x0
	s_delay_alu instid0(VALU_DEP_1)
	v_cmpx_gt_u64_e64 s[8:9], v[36:37]
	s_cbranch_execz .LBB0_47
; %bb.1:
	s_clause 0x1
	s_load_b128 s[4:7], s[0:1], 0x18
	s_load_b64 s[16:17], s[0:1], 0x0
	v_mul_lo_u16 v1, 0xe0, v1
	s_movk_i32 s2, 0xfdd0
	s_mov_b32 s3, -1
	s_delay_alu instid0(VALU_DEP_1) | instskip(NEXT) | instid1(VALU_DEP_1)
	v_sub_nc_u16 v18, v0, v1
	v_and_b32_e32 v66, 0xffff, v18
	s_wait_kmcnt 0x0
	s_load_b128 s[12:15], s[4:5], 0x0
	s_wait_kmcnt 0x0
	v_mad_co_u64_u32 v[0:1], null, s14, v36, 0
	v_mad_co_u64_u32 v[2:3], null, s12, v66, 0
	s_mul_u64 s[4:5], s[12:13], 0x310
	s_mul_u64 s[2:3], s[12:13], s[2:3]
	s_delay_alu instid0(SALU_CYCLE_1) | instskip(NEXT) | instid1(VALU_DEP_1)
	s_lshl_b64 s[2:3], s[2:3], 3
	v_mad_co_u64_u32 v[4:5], null, s15, v36, v[1:2]
	s_delay_alu instid0(VALU_DEP_1) | instskip(NEXT) | instid1(VALU_DEP_3)
	v_mov_b32_e32 v1, v4
	v_mad_co_u64_u32 v[5:6], null, s13, v66, v[3:4]
	v_lshlrev_b32_e32 v65, 3, v66
	s_delay_alu instid0(VALU_DEP_3)
	v_lshlrev_b64_e32 v[0:1], 3, v[0:1]
	global_load_b64 v[39:40], v65, s[16:17] offset:6272
	v_mov_b32_e32 v3, v5
	s_clause 0x1
	global_load_b64 v[49:50], v65, s[16:17]
	global_load_b64 v[41:42], v65, s[16:17] offset:1792
	v_add_co_u32 v0, vcc_lo, s10, v0
	v_add_co_ci_u32_e32 v1, vcc_lo, s11, v1, vcc_lo
	v_lshlrev_b64_e32 v[2:3], 3, v[2:3]
	s_lshl_b64 s[10:11], s[4:5], 3
	s_delay_alu instid0(VALU_DEP_1) | instskip(SKIP_1) | instid1(VALU_DEP_2)
	v_add_co_u32 v0, vcc_lo, v0, v2
	s_wait_alu 0xfffd
	v_add_co_ci_u32_e32 v1, vcc_lo, v1, v3, vcc_lo
	s_wait_alu 0xfffe
	s_delay_alu instid0(VALU_DEP_2)
	v_add_co_u32 v2, vcc_lo, v0, s10
	global_load_b64 v[4:5], v[0:1], off
	s_wait_alu 0xfffd
	v_add_co_ci_u32_e32 v3, vcc_lo, s11, v1, vcc_lo
	v_add_co_u32 v0, vcc_lo, v2, s2
	s_wait_alu 0xfffd
	s_delay_alu instid0(VALU_DEP_2) | instskip(NEXT) | instid1(VALU_DEP_2)
	v_add_co_ci_u32_e32 v1, vcc_lo, s3, v3, vcc_lo
	v_add_co_u32 v6, vcc_lo, v0, s10
	s_wait_alu 0xfffd
	s_delay_alu instid0(VALU_DEP_2) | instskip(NEXT) | instid1(VALU_DEP_2)
	v_add_co_ci_u32_e32 v7, vcc_lo, s11, v1, vcc_lo
	v_add_co_u32 v10, vcc_lo, v6, s2
	s_wait_alu 0xfffd
	s_delay_alu instid0(VALU_DEP_2) | instskip(SKIP_2) | instid1(VALU_DEP_1)
	v_add_co_ci_u32_e32 v11, vcc_lo, s3, v7, vcc_lo
	s_wait_loadcnt 0x0
	v_mul_f32_e32 v14, v5, v50
	v_fmac_f32_e32 v14, v4, v49
	global_load_b64 v[43:44], v65, s[16:17] offset:8064
	s_clause 0x2
	global_load_b64 v[2:3], v[2:3], off
	global_load_b64 v[8:9], v[0:1], off
	;; [unrolled: 1-line block ×3, first 2 shown]
	v_add_co_u32 v0, vcc_lo, v10, s10
	s_wait_alu 0xfffd
	v_add_co_ci_u32_e32 v1, vcc_lo, s11, v11, vcc_lo
	global_load_b64 v[45:46], v65, s[16:17] offset:3584
	global_load_b64 v[10:11], v[10:11], off
	global_load_b64 v[47:48], v65, s[16:17] offset:9856
	global_load_b64 v[12:13], v[0:1], off
	s_load_b64 s[8:9], s[0:1], 0x38
	s_load_b128 s[4:7], s[6:7], 0x0
	v_mul_f32_e32 v15, v4, v50
	v_add_co_u32 v37, s12, s16, v65
	s_wait_alu 0xf1ff
	v_add_co_ci_u32_e64 v38, null, s17, 0, s12
	v_cmp_gt_u16_e32 vcc_lo, 0x70, v18
	s_wait_loadcnt 0x6
	v_mul_f32_e32 v4, v3, v40
	v_fma_f32 v15, v5, v49, -v15
	s_wait_loadcnt 0x5
	v_dual_mul_f32 v5, v2, v40 :: v_dual_mul_f32 v16, v9, v42
	s_delay_alu instid0(VALU_DEP_3) | instskip(SKIP_2) | instid1(VALU_DEP_3)
	v_dual_mul_f32 v17, v8, v42 :: v_dual_fmac_f32 v4, v2, v39
	s_wait_loadcnt 0x4
	v_mul_f32_e32 v2, v7, v44
	v_fma_f32 v5, v3, v39, -v5
	v_dual_mul_f32 v3, v6, v44 :: v_dual_fmac_f32 v16, v8, v41
	v_fma_f32 v17, v9, v41, -v17
	s_wait_loadcnt 0x2
	v_mul_f32_e32 v9, v10, v46
	s_wait_loadcnt 0x0
	v_dual_fmac_f32 v2, v6, v43 :: v_dual_mul_f32 v19, v12, v48
	v_mul_f32_e32 v6, v11, v46
	v_mul_f32_e32 v8, v13, v48
	v_fma_f32 v3, v7, v43, -v3
	v_fma_f32 v7, v11, v45, -v9
	;; [unrolled: 1-line block ×3, first 2 shown]
	v_fmac_f32_e32 v6, v10, v45
	v_fmac_f32_e32 v8, v12, v47
	v_add_nc_u32_e32 v10, 0x1f00, v65
	ds_store_b64 v65, v[4:5] offset:6272
	ds_store_2addr_b64 v65, v[14:15], v[16:17] offset1:224
	ds_store_b64 v65, v[6:7] offset:3584
	ds_store_2addr_b64 v10, v[2:3], v[8:9] offset0:16 offset1:240
	s_and_saveexec_b32 s12, vcc_lo
	s_cbranch_execz .LBB0_3
; %bb.2:
	v_add_co_u32 v0, s2, v0, s2
	s_wait_alu 0xf1ff
	v_add_co_ci_u32_e64 v1, s2, s3, v1, s2
	s_delay_alu instid0(VALU_DEP_2) | instskip(SKIP_1) | instid1(VALU_DEP_2)
	v_add_co_u32 v2, s2, v0, s10
	s_wait_alu 0xf1ff
	v_add_co_ci_u32_e64 v3, s2, s11, v1, s2
	global_load_b64 v[0:1], v[0:1], off
	s_clause 0x1
	global_load_b64 v[4:5], v[37:38], off offset:5376
	global_load_b64 v[6:7], v[37:38], off offset:11648
	global_load_b64 v[2:3], v[2:3], off
	s_wait_loadcnt 0x2
	v_mul_f32_e32 v8, v1, v5
	v_mul_f32_e32 v9, v0, v5
	s_wait_loadcnt 0x0
	v_mul_f32_e32 v5, v3, v7
	s_delay_alu instid0(VALU_DEP_3) | instskip(NEXT) | instid1(VALU_DEP_3)
	v_dual_mul_f32 v7, v2, v7 :: v_dual_fmac_f32 v8, v0, v4
	v_fma_f32 v9, v1, v4, -v9
	s_delay_alu instid0(VALU_DEP_3) | instskip(NEXT) | instid1(VALU_DEP_3)
	v_fmac_f32_e32 v5, v2, v6
	v_fma_f32 v6, v3, v6, -v7
	ds_store_b64 v65, v[8:9] offset:5376
	ds_store_b64 v65, v[5:6] offset:11648
.LBB0_3:
	s_wait_alu 0xfffe
	s_or_b32 exec_lo, exec_lo, s12
	v_add_nc_u32_e32 v0, 0x1800, v65
	global_wb scope:SCOPE_SE
	s_wait_dscnt 0x0
	s_wait_kmcnt 0x0
	s_barrier_signal -1
	s_barrier_wait -1
	global_inv scope:SCOPE_SE
	ds_load_2addr_b64 v[1:4], v65 offset1:224
	ds_load_2addr_b64 v[5:8], v0 offset0:16 offset1:240
	ds_load_b64 v[9:10], v65 offset:3584
	ds_load_b64 v[13:14], v65 offset:9856
                                        ; implicit-def: $vgpr15
                                        ; implicit-def: $vgpr11
	s_and_saveexec_b32 s2, vcc_lo
	s_cbranch_execz .LBB0_5
; %bb.4:
	ds_load_b64 v[11:12], v65 offset:5376
	ds_load_b64 v[15:16], v65 offset:11648
.LBB0_5:
	s_wait_alu 0xfffe
	s_or_b32 exec_lo, exec_lo, s2
	s_load_b64 s[0:1], s[0:1], 0x8
	s_wait_dscnt 0x2
	v_dual_sub_f32 v21, v1, v5 :: v_dual_sub_f32 v22, v2, v6
	s_wait_dscnt 0x0
	v_dual_sub_f32 v7, v3, v7 :: v_dual_sub_f32 v28, v10, v14
	v_dual_sub_f32 v8, v4, v8 :: v_dual_lshlrev_b32 v17, 1, v66
	v_add_co_u32 v18, null, 0x2a0, v66
	v_fma_f32 v20, v2, 2.0, -v22
	s_delay_alu instid0(VALU_DEP_4) | instskip(SKIP_4) | instid1(VALU_DEP_4)
	v_fma_f32 v5, v3, 2.0, -v7
	v_dual_sub_f32 v27, v9, v13 :: v_dual_sub_f32 v2, v11, v15
	v_dual_sub_f32 v3, v12, v16 :: v_dual_lshlrev_b32 v70, 4, v66
	v_fma_f32 v19, v1, 2.0, -v21
	v_add_nc_u32_e32 v24, 0x1c0, v17
	v_fma_f32 v0, v11, 2.0, -v2
	s_delay_alu instid0(VALU_DEP_4)
	v_fma_f32 v1, v12, 2.0, -v3
	v_add_nc_u32_e32 v79, 0x380, v17
	v_lshlrev_b32_e32 v35, 4, v18
	v_fma_f32 v6, v4, 2.0, -v8
	v_lshlrev_b32_e32 v4, 3, v17
	v_fma_f32 v25, v9, 2.0, -v27
	v_fma_f32 v26, v10, 2.0, -v28
	global_wb scope:SCOPE_SE
	s_wait_kmcnt 0x0
	s_barrier_signal -1
	s_barrier_wait -1
	global_inv scope:SCOPE_SE
	ds_store_b128 v70, v[19:22]
	ds_store_b128 v4, v[5:8] offset:3584
	ds_store_b128 v4, v[25:28] offset:7168
	s_and_saveexec_b32 s2, vcc_lo
	s_cbranch_execz .LBB0_7
; %bb.6:
	ds_store_b128 v35, v[0:3]
.LBB0_7:
	s_wait_alu 0xfffe
	s_or_b32 exec_lo, exec_lo, s2
	v_add_nc_u32_e32 v8, 0x1800, v65
	global_wb scope:SCOPE_SE
	s_wait_dscnt 0x0
	s_barrier_signal -1
	s_barrier_wait -1
	global_inv scope:SCOPE_SE
	ds_load_2addr_b64 v[4:7], v65 offset1:224
	ds_load_2addr_b64 v[8:11], v8 offset0:16 offset1:240
	ds_load_b64 v[12:13], v65 offset:3584
	ds_load_b64 v[14:15], v65 offset:9856
	s_and_saveexec_b32 s2, vcc_lo
	s_cbranch_execz .LBB0_9
; %bb.8:
	ds_load_b64 v[0:1], v65 offset:5376
	ds_load_b64 v[2:3], v65 offset:11648
.LBB0_9:
	s_wait_alu 0xfffe
	s_or_b32 exec_lo, exec_lo, s2
	v_and_b32_e32 v68, 1, v66
	s_delay_alu instid0(VALU_DEP_1)
	v_lshlrev_b32_e32 v16, 3, v68
	v_and_or_b32 v19, 0x7fc, v79, v68
	global_load_b64 v[51:52], v16, s[0:1]
	v_lshlrev_b32_e32 v67, 1, v18
	v_lshlrev_b32_e32 v72, 3, v19
	global_wb scope:SCOPE_SE
	s_wait_loadcnt_dscnt 0x0
	s_barrier_signal -1
	s_barrier_wait -1
	global_inv scope:SCOPE_SE
	v_mul_f32_e32 v21, v15, v52
	v_mul_f32_e32 v19, v11, v52
	v_and_or_b32 v18, 0x3fc, v24, v68
	v_mul_f32_e32 v25, v2, v52
	v_and_or_b32 v16, 0x1fc, v17, v68
	s_delay_alu instid0(VALU_DEP_3) | instskip(NEXT) | instid1(VALU_DEP_3)
	v_dual_mul_f32 v18, v8, v52 :: v_dual_lshlrev_b32 v73, 3, v18
	v_dual_fmac_f32 v25, v3, v51 :: v_dual_mul_f32 v22, v14, v52
	s_delay_alu instid0(VALU_DEP_2) | instskip(NEXT) | instid1(VALU_DEP_4)
	v_dual_mul_f32 v23, v3, v52 :: v_dual_fmac_f32 v18, v9, v51
	v_lshlrev_b32_e32 v74, 3, v16
	v_mul_f32_e32 v16, v9, v52
	s_delay_alu instid0(VALU_DEP_4) | instskip(SKIP_4) | instid1(VALU_DEP_4)
	v_fmac_f32_e32 v22, v15, v51
	v_mul_f32_e32 v20, v10, v52
	v_fma_f32 v9, v10, v51, -v19
	v_fma_f32 v10, v14, v51, -v21
	;; [unrolled: 1-line block ×3, first 2 shown]
	v_dual_sub_f32 v19, v13, v22 :: v_dual_fmac_f32 v20, v11, v51
	v_fma_f32 v11, v2, v51, -v23
	s_delay_alu instid0(VALU_DEP_3) | instskip(SKIP_1) | instid1(VALU_DEP_4)
	v_dual_sub_f32 v3, v5, v18 :: v_dual_sub_f32 v2, v4, v8
	v_sub_f32_e32 v18, v12, v10
	v_dual_sub_f32 v14, v6, v9 :: v_dual_sub_f32 v15, v7, v20
	s_delay_alu instid0(VALU_DEP_4) | instskip(NEXT) | instid1(VALU_DEP_4)
	v_dual_sub_f32 v10, v0, v11 :: v_dual_sub_f32 v11, v1, v25
	v_fma_f32 v4, v4, 2.0, -v2
	v_fma_f32 v5, v5, 2.0, -v3
	s_delay_alu instid0(VALU_DEP_4) | instskip(NEXT) | instid1(VALU_DEP_4)
	v_fma_f32 v6, v6, 2.0, -v14
	v_fma_f32 v8, v0, 2.0, -v10
	;; [unrolled: 1-line block ×6, first 2 shown]
	ds_store_2addr_b64 v74, v[4:5], v[2:3] offset1:2
	ds_store_2addr_b64 v73, v[6:7], v[14:15] offset1:2
	;; [unrolled: 1-line block ×3, first 2 shown]
	s_and_saveexec_b32 s2, vcc_lo
	s_cbranch_execz .LBB0_11
; %bb.10:
	v_and_or_b32 v0, 0x7fc, v67, v68
	s_delay_alu instid0(VALU_DEP_1)
	v_lshlrev_b32_e32 v0, 3, v0
	ds_store_2addr_b64 v0, v[8:9], v[10:11] offset1:2
.LBB0_11:
	s_wait_alu 0xfffe
	s_or_b32 exec_lo, exec_lo, s2
	v_add_nc_u32_e32 v4, 0x1800, v65
	global_wb scope:SCOPE_SE
	s_wait_dscnt 0x0
	s_barrier_signal -1
	s_barrier_wait -1
	global_inv scope:SCOPE_SE
	ds_load_2addr_b64 v[0:3], v65 offset1:224
	ds_load_2addr_b64 v[4:7], v4 offset0:16 offset1:240
	ds_load_b64 v[12:13], v65 offset:3584
	ds_load_b64 v[14:15], v65 offset:9856
	s_and_saveexec_b32 s2, vcc_lo
	s_cbranch_execz .LBB0_13
; %bb.12:
	ds_load_b64 v[8:9], v65 offset:5376
	ds_load_b64 v[10:11], v65 offset:11648
.LBB0_13:
	s_wait_alu 0xfffe
	s_or_b32 exec_lo, exec_lo, s2
	v_and_b32_e32 v69, 3, v66
	s_delay_alu instid0(VALU_DEP_1)
	v_lshlrev_b32_e32 v16, 3, v69
	v_and_or_b32 v18, 0x3f8, v24, v69
	global_load_b64 v[53:54], v16, s[0:1] offset:16
	global_wb scope:SCOPE_SE
	s_wait_loadcnt_dscnt 0x0
	s_barrier_signal -1
	s_barrier_wait -1
	global_inv scope:SCOPE_SE
	v_mul_f32_e32 v20, v6, v54
	v_lshlrev_b32_e32 v77, 3, v18
	v_mul_f32_e32 v25, v10, v54
	v_mul_f32_e32 v18, v4, v54
	;; [unrolled: 1-line block ×3, first 2 shown]
	s_delay_alu instid0(VALU_DEP_3) | instskip(NEXT) | instid1(VALU_DEP_3)
	v_fmac_f32_e32 v25, v11, v53
	v_fmac_f32_e32 v18, v5, v53
	v_and_or_b32 v16, 0x1f8, v17, v69
	v_and_or_b32 v19, 0x7f8, v79, v69
	s_delay_alu instid0(VALU_DEP_2) | instskip(NEXT) | instid1(VALU_DEP_2)
	v_lshlrev_b32_e32 v78, 3, v16
	v_dual_mul_f32 v16, v5, v54 :: v_dual_lshlrev_b32 v75, 3, v19
	v_mul_f32_e32 v19, v7, v54
	v_sub_f32_e32 v5, v1, v18
	s_delay_alu instid0(VALU_DEP_3)
	v_fma_f32 v4, v4, v53, -v16
	v_mul_f32_e32 v23, v11, v54
	v_sub_f32_e32 v11, v9, v25
	v_fmac_f32_e32 v20, v7, v53
	v_mul_f32_e32 v22, v14, v54
	v_sub_f32_e32 v4, v0, v4
	v_fma_f32 v10, v10, v53, -v23
	v_fma_f32 v6, v6, v53, -v19
	v_sub_f32_e32 v7, v3, v20
	v_fma_f32 v14, v14, v53, -v21
	v_fmac_f32_e32 v22, v15, v53
	v_sub_f32_e32 v10, v8, v10
	v_sub_f32_e32 v6, v2, v6
	v_fma_f32 v0, v0, 2.0, -v4
	v_sub_f32_e32 v14, v12, v14
	v_sub_f32_e32 v15, v13, v22
	v_fma_f32 v1, v1, 2.0, -v5
	v_fma_f32 v8, v8, 2.0, -v10
	;; [unrolled: 1-line block ×7, first 2 shown]
	ds_store_2addr_b64 v78, v[0:1], v[4:5] offset1:4
	ds_store_2addr_b64 v77, v[2:3], v[6:7] offset1:4
	;; [unrolled: 1-line block ×3, first 2 shown]
	s_and_saveexec_b32 s2, vcc_lo
	s_cbranch_execz .LBB0_15
; %bb.14:
	v_and_or_b32 v0, 0x7f8, v67, v69
	s_delay_alu instid0(VALU_DEP_1)
	v_lshlrev_b32_e32 v0, 3, v0
	ds_store_2addr_b64 v0, v[8:9], v[10:11] offset1:4
.LBB0_15:
	s_wait_alu 0xfffe
	s_or_b32 exec_lo, exec_lo, s2
	v_add_nc_u32_e32 v4, 0x1800, v65
	global_wb scope:SCOPE_SE
	s_wait_dscnt 0x0
	s_barrier_signal -1
	s_barrier_wait -1
	global_inv scope:SCOPE_SE
	ds_load_2addr_b64 v[0:3], v65 offset1:224
	ds_load_2addr_b64 v[4:7], v4 offset0:16 offset1:240
	ds_load_b64 v[12:13], v65 offset:3584
	ds_load_b64 v[14:15], v65 offset:9856
	s_and_saveexec_b32 s2, vcc_lo
	s_cbranch_execz .LBB0_17
; %bb.16:
	ds_load_b64 v[8:9], v65 offset:5376
	ds_load_b64 v[10:11], v65 offset:11648
.LBB0_17:
	s_wait_alu 0xfffe
	s_or_b32 exec_lo, exec_lo, s2
	v_and_b32_e32 v71, 7, v66
	s_delay_alu instid0(VALU_DEP_1)
	v_lshlrev_b32_e32 v16, 3, v71
	v_and_or_b32 v18, 0x3f0, v24, v71
	global_load_b64 v[57:58], v16, s[0:1] offset:48
	global_wb scope:SCOPE_SE
	s_wait_loadcnt_dscnt 0x0
	s_barrier_signal -1
	s_barrier_wait -1
	global_inv scope:SCOPE_SE
	v_mul_f32_e32 v20, v6, v58
	v_lshlrev_b32_e32 v81, 3, v18
	v_mul_f32_e32 v22, v14, v58
	v_mul_f32_e32 v25, v10, v58
	v_mul_f32_e32 v23, v11, v58
	v_fmac_f32_e32 v20, v7, v57
	v_mul_f32_e32 v18, v4, v58
	v_fmac_f32_e32 v22, v15, v57
	v_mul_f32_e32 v21, v15, v58
	v_fmac_f32_e32 v25, v11, v57
	v_fma_f32 v10, v10, v57, -v23
	v_fmac_f32_e32 v18, v5, v57
	v_and_or_b32 v16, 0x1f0, v17, v71
	v_and_or_b32 v19, 0x7f0, v79, v71
	v_fma_f32 v14, v14, v57, -v21
	v_sub_f32_e32 v11, v9, v25
	s_delay_alu instid0(VALU_DEP_4) | instskip(NEXT) | instid1(VALU_DEP_4)
	v_dual_sub_f32 v15, v13, v22 :: v_dual_lshlrev_b32 v82, 3, v16
	v_lshlrev_b32_e32 v80, 3, v19
	v_mul_f32_e32 v16, v5, v58
	v_mul_f32_e32 v19, v7, v58
	v_sub_f32_e32 v7, v3, v20
	v_fma_f32 v13, v13, 2.0, -v15
	v_sub_f32_e32 v5, v1, v18
	v_fma_f32 v4, v4, v57, -v16
	v_fma_f32 v6, v6, v57, -v19
	v_sub_f32_e32 v10, v8, v10
	v_sub_f32_e32 v14, v12, v14
	v_fma_f32 v9, v9, 2.0, -v11
	v_sub_f32_e32 v4, v0, v4
	v_sub_f32_e32 v6, v2, v6
	v_fma_f32 v1, v1, 2.0, -v5
	v_fma_f32 v8, v8, 2.0, -v10
	v_fma_f32 v3, v3, 2.0, -v7
	v_fma_f32 v0, v0, 2.0, -v4
	v_fma_f32 v2, v2, 2.0, -v6
	v_fma_f32 v12, v12, 2.0, -v14
	ds_store_2addr_b64 v82, v[0:1], v[4:5] offset1:8
	ds_store_2addr_b64 v81, v[2:3], v[6:7] offset1:8
	;; [unrolled: 1-line block ×3, first 2 shown]
	s_and_saveexec_b32 s2, vcc_lo
	s_cbranch_execz .LBB0_19
; %bb.18:
	v_and_or_b32 v0, 0x7f0, v67, v71
	s_delay_alu instid0(VALU_DEP_1)
	v_lshlrev_b32_e32 v0, 3, v0
	ds_store_2addr_b64 v0, v[8:9], v[10:11] offset1:8
.LBB0_19:
	s_wait_alu 0xfffe
	s_or_b32 exec_lo, exec_lo, s2
	v_add_nc_u32_e32 v4, 0x1800, v65
	global_wb scope:SCOPE_SE
	s_wait_dscnt 0x0
	s_barrier_signal -1
	s_barrier_wait -1
	global_inv scope:SCOPE_SE
	ds_load_2addr_b64 v[0:3], v65 offset1:224
	ds_load_2addr_b64 v[4:7], v4 offset0:16 offset1:240
	ds_load_b64 v[12:13], v65 offset:3584
	ds_load_b64 v[14:15], v65 offset:9856
	s_and_saveexec_b32 s2, vcc_lo
	s_cbranch_execz .LBB0_21
; %bb.20:
	ds_load_b64 v[8:9], v65 offset:5376
	ds_load_b64 v[10:11], v65 offset:11648
.LBB0_21:
	s_wait_alu 0xfffe
	s_or_b32 exec_lo, exec_lo, s2
	v_and_b32_e32 v76, 15, v66
	s_delay_alu instid0(VALU_DEP_1)
	v_lshlrev_b32_e32 v16, 3, v76
	global_load_b64 v[55:56], v16, s[0:1] offset:112
	v_and_or_b32 v16, 0x1e0, v17, v76
	v_and_or_b32 v17, 0x3e0, v24, v76
	global_wb scope:SCOPE_SE
	s_wait_loadcnt_dscnt 0x0
	s_barrier_signal -1
	s_barrier_wait -1
	global_inv scope:SCOPE_SE
	v_dual_mul_f32 v19, v6, v56 :: v_dual_lshlrev_b32 v84, 3, v17
	v_mul_f32_e32 v17, v4, v56
	v_and_or_b32 v18, 0x7e0, v79, v76
	v_mul_f32_e32 v21, v14, v56
	v_mul_f32_e32 v23, v10, v56
	s_delay_alu instid0(VALU_DEP_4) | instskip(NEXT) | instid1(VALU_DEP_4)
	v_dual_mul_f32 v22, v11, v56 :: v_dual_fmac_f32 v17, v5, v55
	v_dual_mul_f32 v18, v7, v56 :: v_dual_lshlrev_b32 v83, 3, v18
	s_delay_alu instid0(VALU_DEP_4)
	v_fmac_f32_e32 v21, v15, v55
	v_mul_f32_e32 v20, v15, v56
	v_fmac_f32_e32 v23, v11, v55
	v_fma_f32 v15, v10, v55, -v22
	v_fma_f32 v6, v6, v55, -v18
	v_sub_f32_e32 v11, v13, v21
	v_lshlrev_b32_e32 v85, 3, v16
	v_mul_f32_e32 v16, v5, v56
	v_fma_f32 v14, v14, v55, -v20
	v_dual_sub_f32 v6, v2, v6 :: v_dual_sub_f32 v5, v1, v17
	v_sub_f32_e32 v33, v8, v15
	s_delay_alu instid0(VALU_DEP_4) | instskip(NEXT) | instid1(VALU_DEP_4)
	v_fma_f32 v4, v4, v55, -v16
	v_dual_fmac_f32 v19, v7, v55 :: v_dual_sub_f32 v10, v12, v14
	s_delay_alu instid0(VALU_DEP_4) | instskip(SKIP_1) | instid1(VALU_DEP_3)
	v_fma_f32 v1, v1, 2.0, -v5
	v_sub_f32_e32 v34, v9, v23
	v_dual_sub_f32 v4, v0, v4 :: v_dual_sub_f32 v7, v3, v19
	v_fma_f32 v2, v2, 2.0, -v6
	v_fma_f32 v12, v12, 2.0, -v10
	;; [unrolled: 1-line block ×3, first 2 shown]
	s_delay_alu instid0(VALU_DEP_4)
	v_fma_f32 v0, v0, 2.0, -v4
	v_fma_f32 v3, v3, 2.0, -v7
	ds_store_2addr_b64 v85, v[0:1], v[4:5] offset1:16
	ds_store_2addr_b64 v84, v[2:3], v[6:7] offset1:16
	;; [unrolled: 1-line block ×3, first 2 shown]
	s_and_saveexec_b32 s2, vcc_lo
	s_cbranch_execz .LBB0_23
; %bb.22:
	v_and_or_b32 v2, 0x7e0, v67, v76
	v_fma_f32 v1, v9, 2.0, -v34
	v_fma_f32 v0, v8, 2.0, -v33
	s_delay_alu instid0(VALU_DEP_3)
	v_lshlrev_b32_e32 v2, 3, v2
	ds_store_2addr_b64 v2, v[0:1], v[33:34] offset1:16
.LBB0_23:
	s_wait_alu 0xfffe
	s_or_b32 exec_lo, exec_lo, s2
	v_and_b32_e32 v27, 31, v66
	global_wb scope:SCOPE_SE
	s_wait_dscnt 0x0
	s_barrier_signal -1
	s_barrier_wait -1
	global_inv scope:SCOPE_SE
	v_mad_co_u64_u32 v[0:1], null, v27, 48, s[0:1]
	v_lshrrev_b32_e32 v25, 5, v66
	s_clause 0x2
	global_load_b128 v[8:11], v[0:1], off offset:240
	global_load_b128 v[4:7], v[0:1], off offset:256
	;; [unrolled: 1-line block ×3, first 2 shown]
	v_add_nc_u32_e32 v87, 0xe00, v65
	ds_load_2addr_b64 v[12:15], v65 offset1:224
	v_mul_u32_u24_e32 v28, 0xe0, v25
	ds_load_b64 v[25:26], v65 offset:10752
	ds_load_2addr_b64 v[16:19], v87 offset1:224
	s_wait_loadcnt_dscnt 0x200
	v_dual_mul_f32 v31, v17, v11 :: v_dual_add_nc_u32 v88, 0x1c00, v65
	ds_load_2addr_b64 v[20:23], v88 offset1:224
	v_mul_f32_e32 v30, v14, v9
	v_or_b32_e32 v29, v28, v27
	v_mul_f32_e32 v32, v16, v11
	s_wait_loadcnt 0x0
	v_mul_f32_e32 v89, v26, v3
	v_dual_mul_f32 v59, v19, v5 :: v_dual_mul_f32 v90, v25, v3
	v_lshlrev_b32_e32 v86, 3, v29
	v_mul_f32_e32 v29, v15, v9
	v_fmac_f32_e32 v30, v15, v8
	v_fma_f32 v15, v16, v10, -v31
	v_fma_f32 v16, v18, v4, -v59
	v_mad_co_u64_u32 v[27:28], null, v66, 48, s[0:1]
	global_wb scope:SCOPE_SE
	s_wait_dscnt 0x0
	s_barrier_signal -1
	s_barrier_wait -1
	global_inv scope:SCOPE_SE
	s_add_nc_u64 s[0:1], s[16:17], 0x3100
	v_fmac_f32_e32 v32, v17, v10
	v_mul_f32_e32 v62, v20, v7
	v_dual_mul_f32 v64, v22, v1 :: v_dual_mul_f32 v61, v21, v7
	v_mul_f32_e32 v63, v23, v1
	v_fma_f32 v14, v14, v8, -v29
	s_delay_alu instid0(VALU_DEP_3) | instskip(SKIP_3) | instid1(VALU_DEP_4)
	v_fmac_f32_e32 v64, v23, v0
	v_mul_f32_e32 v60, v18, v5
	v_fma_f32 v17, v20, v6, -v61
	v_fma_f32 v18, v25, v2, -v89
	v_dual_fmac_f32 v90, v26, v2 :: v_dual_add_f32 v23, v32, v64
	s_delay_alu instid0(VALU_DEP_4) | instskip(SKIP_3) | instid1(VALU_DEP_3)
	v_fmac_f32_e32 v60, v19, v4
	v_fma_f32 v19, v22, v0, -v63
	v_dual_fmac_f32 v62, v21, v6 :: v_dual_add_f32 v25, v16, v17
	v_sub_f32_e32 v16, v17, v16
	v_add_f32_e32 v22, v15, v19
	v_dual_sub_f32 v15, v15, v19 :: v_dual_add_f32 v20, v14, v18
	v_dual_sub_f32 v14, v14, v18 :: v_dual_sub_f32 v19, v32, v64
	v_add_f32_e32 v21, v30, v90
	v_sub_f32_e32 v17, v62, v60
	s_delay_alu instid0(VALU_DEP_4)
	v_add_f32_e32 v59, v16, v15
	v_dual_add_f32 v26, v60, v62 :: v_dual_add_f32 v29, v22, v20
	v_sub_f32_e32 v18, v30, v90
	v_dual_add_f32 v30, v23, v21 :: v_dual_sub_f32 v31, v22, v20
	v_sub_f32_e32 v20, v20, v25
	v_sub_f32_e32 v22, v25, v22
	;; [unrolled: 1-line block ×3, first 2 shown]
	v_add_f32_e32 v25, v25, v29
	v_dual_add_f32 v60, v17, v19 :: v_dual_sub_f32 v19, v19, v18
	v_sub_f32_e32 v17, v18, v17
	v_dual_sub_f32 v32, v23, v21 :: v_dual_mul_f32 v29, 0x3d64c772, v22
	v_sub_f32_e32 v23, v26, v23
	v_sub_f32_e32 v61, v16, v15
	;; [unrolled: 1-line block ×3, first 2 shown]
	v_dual_sub_f32 v21, v21, v26 :: v_dual_sub_f32 v16, v14, v16
	v_add_f32_e32 v26, v26, v30
	s_delay_alu instid0(VALU_DEP_4) | instskip(NEXT) | instid1(VALU_DEP_4)
	v_dual_add_f32 v14, v59, v14 :: v_dual_mul_f32 v59, 0xbf08b237, v61
	v_mul_f32_e32 v61, 0x3f5ff5aa, v15
	s_delay_alu instid0(VALU_DEP_3) | instskip(SKIP_3) | instid1(VALU_DEP_4)
	v_dual_mul_f32 v20, 0x3f4a47b2, v20 :: v_dual_add_f32 v13, v13, v26
	v_mul_f32_e32 v21, 0x3f4a47b2, v21
	v_fma_f32 v29, 0x3f3bfb3b, v31, -v29
	v_add_f32_e32 v18, v60, v18
	v_fmamk_f32 v22, v22, 0x3d64c772, v20
	v_fma_f32 v20, 0xbf3bfb3b, v31, -v20
	v_fmamk_f32 v31, v16, 0x3eae86e6, v59
	v_add_f32_e32 v12, v12, v25
	v_fma_f32 v59, 0x3f5ff5aa, v15, -v59
	v_fma_f32 v61, 0xbeae86e6, v16, -v61
	v_fmamk_f32 v16, v26, 0xbf955555, v13
	v_fmac_f32_e32 v31, 0x3ee1c552, v14
	v_dual_mul_f32 v30, 0x3d64c772, v23 :: v_dual_fmamk_f32 v23, v23, 0x3d64c772, v21
	v_fmamk_f32 v15, v25, 0xbf955555, v12
	v_fma_f32 v21, 0xbf3bfb3b, v32, -v21
	v_fmac_f32_e32 v59, 0x3ee1c552, v14
	s_delay_alu instid0(VALU_DEP_4) | instskip(NEXT) | instid1(VALU_DEP_4)
	v_dual_fmac_f32 v61, 0x3ee1c552, v14 :: v_dual_add_f32 v26, v23, v16
	v_dual_add_f32 v23, v20, v15 :: v_dual_mul_f32 v60, 0xbf08b237, v62
	v_add_f32_e32 v25, v22, v15
	v_add_f32_e32 v22, v29, v15
	;; [unrolled: 1-line block ×3, first 2 shown]
	v_fma_f32 v30, 0x3f3bfb3b, v32, -v30
	v_mul_f32_e32 v62, 0x3f5ff5aa, v19
	v_dual_fmamk_f32 v32, v17, 0x3eae86e6, v60 :: v_dual_sub_f32 v15, v26, v31
	v_fma_f32 v60, 0x3f5ff5aa, v19, -v60
	s_delay_alu instid0(VALU_DEP_4) | instskip(NEXT) | instid1(VALU_DEP_4)
	v_add_f32_e32 v21, v30, v16
	v_fma_f32 v62, 0xbeae86e6, v17, -v62
	s_delay_alu instid0(VALU_DEP_4) | instskip(NEXT) | instid1(VALU_DEP_3)
	v_dual_fmac_f32 v32, 0x3ee1c552, v18 :: v_dual_sub_f32 v17, v29, v61
	v_dual_fmac_f32 v60, 0x3ee1c552, v18 :: v_dual_add_f32 v19, v59, v21
	s_delay_alu instid0(VALU_DEP_3) | instskip(NEXT) | instid1(VALU_DEP_3)
	v_dual_fmac_f32 v62, 0x3ee1c552, v18 :: v_dual_sub_f32 v21, v21, v59
	v_dual_add_f32 v14, v32, v25 :: v_dual_sub_f32 v25, v25, v32
	s_delay_alu instid0(VALU_DEP_3) | instskip(NEXT) | instid1(VALU_DEP_3)
	v_sub_f32_e32 v18, v22, v60
	v_add_f32_e32 v16, v62, v23
	v_add_f32_e32 v20, v60, v22
	v_dual_sub_f32 v22, v23, v62 :: v_dual_add_f32 v23, v61, v29
	v_add_f32_e32 v26, v31, v26
	ds_store_2addr_b64 v86, v[12:13], v[14:15] offset1:32
	ds_store_2addr_b64 v86, v[16:17], v[18:19] offset0:64 offset1:96
	ds_store_2addr_b64 v86, v[20:21], v[22:23] offset0:128 offset1:160
	ds_store_b64 v86, v[25:26] offset:1536
	global_wb scope:SCOPE_SE
	s_wait_dscnt 0x0
	s_barrier_signal -1
	s_barrier_wait -1
	global_inv scope:SCOPE_SE
	s_clause 0x2
	global_load_b128 v[20:23], v[27:28], off offset:1776
	global_load_b128 v[16:19], v[27:28], off offset:1792
	;; [unrolled: 1-line block ×3, first 2 shown]
	ds_load_2addr_b64 v[25:28], v65 offset1:224
	ds_load_2addr_b64 v[29:32], v87 offset1:224
	ds_load_2addr_b64 v[59:62], v88 offset1:224
	ds_load_b64 v[63:64], v65 offset:10752
	s_wait_loadcnt_dscnt 0x203
	v_mul_f32_e32 v89, v28, v21
	s_wait_loadcnt_dscnt 0x101
	v_dual_mul_f32 v95, v60, v19 :: v_dual_mul_f32 v90, v27, v21
	s_wait_loadcnt_dscnt 0x0
	v_mul_f32_e32 v99, v64, v15
	v_mul_f32_e32 v91, v30, v23
	v_dual_mul_f32 v92, v29, v23 :: v_dual_mul_f32 v97, v62, v13
	v_mul_f32_e32 v93, v32, v17
	v_fma_f32 v27, v27, v20, -v89
	v_fmac_f32_e32 v90, v28, v20
	v_fma_f32 v28, v29, v22, -v91
	v_fmac_f32_e32 v92, v30, v22
	v_fma_f32 v29, v31, v16, -v93
	v_fma_f32 v30, v59, v18, -v95
	v_mul_f32_e32 v100, v63, v15
	v_mul_f32_e32 v96, v59, v19
	s_delay_alu instid0(VALU_DEP_2)
	v_fmac_f32_e32 v100, v64, v14
	v_mul_f32_e32 v94, v31, v17
	v_fma_f32 v31, v63, v14, -v99
	v_mul_f32_e32 v98, v61, v13
	v_add_f32_e32 v63, v29, v30
	v_sub_f32_e32 v29, v30, v29
	s_delay_alu instid0(VALU_DEP_4) | instskip(SKIP_4) | instid1(VALU_DEP_1)
	v_add_f32_e32 v59, v27, v31
	v_sub_f32_e32 v27, v27, v31
	v_sub_f32_e32 v31, v90, v100
	v_fmac_f32_e32 v94, v32, v16
	v_fma_f32 v32, v61, v12, -v97
	v_add_f32_e32 v61, v28, v32
	v_fmac_f32_e32 v96, v60, v18
	s_delay_alu instid0(VALU_DEP_2) | instskip(SKIP_3) | instid1(VALU_DEP_4)
	v_dual_fmac_f32 v98, v62, v12 :: v_dual_add_f32 v89, v61, v59
	v_dual_sub_f32 v28, v28, v32 :: v_dual_sub_f32 v91, v61, v59
	v_dual_add_f32 v60, v90, v100 :: v_dual_sub_f32 v59, v59, v63
	v_sub_f32_e32 v61, v63, v61
	v_dual_add_f32 v63, v63, v89 :: v_dual_add_f32 v62, v92, v98
	s_delay_alu instid0(VALU_DEP_4)
	v_dual_add_f32 v93, v29, v28 :: v_dual_sub_f32 v32, v92, v98
	v_sub_f32_e32 v95, v29, v28
	v_add_f32_e32 v64, v94, v96
	v_dual_sub_f32 v30, v96, v94 :: v_dual_sub_f32 v29, v27, v29
	v_dual_add_f32 v90, v62, v60 :: v_dual_mul_f32 v59, 0x3f4a47b2, v59
	v_dual_sub_f32 v92, v62, v60 :: v_dual_mul_f32 v89, 0x3d64c772, v61
	v_sub_f32_e32 v28, v28, v27
	v_dual_add_f32 v27, v93, v27 :: v_dual_sub_f32 v60, v60, v64
	v_dual_mul_f32 v93, 0xbf08b237, v95 :: v_dual_sub_f32 v62, v64, v62
	s_delay_alu instid0(VALU_DEP_3)
	v_mul_f32_e32 v95, 0x3f5ff5aa, v28
	v_dual_add_f32 v94, v30, v32 :: v_dual_add_f32 v25, v25, v63
	v_dual_sub_f32 v96, v30, v32 :: v_dual_fmamk_f32 v61, v61, 0x3d64c772, v59
	v_sub_f32_e32 v30, v31, v30
	v_fma_f32 v89, 0x3f3bfb3b, v91, -v89
	v_fma_f32 v59, 0xbf3bfb3b, v91, -v59
	v_dual_fmamk_f32 v91, v29, 0x3eae86e6, v93 :: v_dual_add_f32 v64, v64, v90
	v_fma_f32 v93, 0x3f5ff5aa, v28, -v93
	v_fma_f32 v95, 0xbeae86e6, v29, -v95
	s_delay_alu instid0(VALU_DEP_3) | instskip(NEXT) | instid1(VALU_DEP_3)
	v_dual_fmac_f32 v91, 0x3ee1c552, v27 :: v_dual_add_f32 v26, v26, v64
	v_fmac_f32_e32 v93, 0x3ee1c552, v27
	s_delay_alu instid0(VALU_DEP_2) | instskip(NEXT) | instid1(VALU_DEP_1)
	v_dual_fmamk_f32 v28, v63, 0xbf955555, v25 :: v_dual_fmamk_f32 v29, v64, 0xbf955555, v26
	v_dual_sub_f32 v32, v32, v31 :: v_dual_add_f32 v97, v61, v28
	v_dual_mul_f32 v60, 0x3f4a47b2, v60 :: v_dual_add_f32 v31, v94, v31
	v_dual_mul_f32 v90, 0x3d64c772, v62 :: v_dual_add_f32 v61, v89, v28
	v_add_f32_e32 v59, v59, v28
	v_mul_f32_e32 v94, 0xbf08b237, v96
	v_mul_f32_e32 v96, 0x3f5ff5aa, v32
	v_fmamk_f32 v62, v62, 0x3d64c772, v60
	v_fma_f32 v90, 0x3f3bfb3b, v92, -v90
	v_fma_f32 v60, 0xbf3bfb3b, v92, -v60
	v_fmac_f32_e32 v95, 0x3ee1c552, v27
	v_fma_f32 v96, 0xbeae86e6, v30, -v96
	v_add_f32_e32 v98, v62, v29
	v_add_f32_e32 v62, v90, v29
	v_add_f32_e32 v60, v60, v29
	s_delay_alu instid0(VALU_DEP_4) | instskip(NEXT) | instid1(VALU_DEP_4)
	v_fmac_f32_e32 v96, 0x3ee1c552, v31
	v_sub_f32_e32 v28, v98, v91
	s_delay_alu instid0(VALU_DEP_2) | instskip(SKIP_4) | instid1(VALU_DEP_4)
	v_dual_add_f32 v64, v95, v60 :: v_dual_add_f32 v29, v96, v59
	v_dual_fmamk_f32 v92, v30, 0x3eae86e6, v94 :: v_dual_sub_f32 v63, v59, v96
	v_fma_f32 v94, 0x3f5ff5aa, v32, -v94
	v_sub_f32_e32 v30, v60, v95
	v_add_f32_e32 v32, v93, v62
	v_fmac_f32_e32 v92, 0x3ee1c552, v31
	v_sub_f32_e32 v62, v62, v93
	v_fmac_f32_e32 v94, 0x3ee1c552, v31
	s_delay_alu instid0(VALU_DEP_3) | instskip(SKIP_1) | instid1(VALU_DEP_3)
	v_dual_add_f32 v60, v91, v98 :: v_dual_sub_f32 v59, v97, v92
	v_add_f32_e32 v27, v92, v97
	v_sub_f32_e32 v31, v61, v94
	v_add_f32_e32 v61, v94, v61
	ds_store_2addr_b64 v65, v[25:26], v[27:28] offset1:224
	ds_store_2addr_b64 v87, v[29:30], v[31:32] offset1:224
	;; [unrolled: 1-line block ×3, first 2 shown]
	ds_store_b64 v65, v[59:60] offset:10752
	global_wb scope:SCOPE_SE
	s_wait_dscnt 0x0
	s_barrier_signal -1
	s_barrier_wait -1
	global_inv scope:SCOPE_SE
	s_clause 0x5
	global_load_b64 v[29:30], v[37:38], off offset:12544
	global_load_b64 v[31:32], v65, s[0:1] offset:9856
	global_load_b64 v[87:88], v65, s[0:1] offset:1792
	;; [unrolled: 1-line block ×5, first 2 shown]
	ds_load_2addr_b64 v[25:28], v65 offset1:224
	ds_load_b64 v[61:62], v65 offset:9856
	ds_load_b64 v[95:96], v65 offset:3584
	s_wait_loadcnt_dscnt 0x401
	v_dual_mul_f32 v98, v61, v32 :: v_dual_mul_f32 v63, v26, v30
	v_mul_f32_e32 v64, v25, v30
	v_mul_f32_e32 v30, v62, v32
	s_delay_alu instid0(VALU_DEP_3)
	v_fmac_f32_e32 v98, v62, v31
	v_add_nc_u32_e32 v32, 0x700, v65
	v_fma_f32 v63, v25, v29, -v63
	v_fmac_f32_e32 v64, v26, v29
	v_add_nc_u32_e32 v29, 0x1800, v65
	v_fma_f32 v97, v61, v31, -v30
	s_wait_loadcnt 0x3
	v_mul_f32_e32 v25, v28, v88
	v_mul_f32_e32 v26, v27, v88
	ds_store_b64 v65, v[63:64]
	ds_load_2addr_b64 v[61:64], v29 offset0:16 offset1:240
	s_wait_loadcnt_dscnt 0x202
	v_mul_f32_e32 v30, v96, v90
	v_mul_f32_e32 v31, v95, v90
	v_fma_f32 v25, v27, v87, -v25
	v_fmac_f32_e32 v26, v28, v87
	s_delay_alu instid0(VALU_DEP_4) | instskip(NEXT) | instid1(VALU_DEP_4)
	v_fma_f32 v30, v95, v89, -v30
	v_fmac_f32_e32 v31, v96, v89
	s_wait_loadcnt_dscnt 0x100
	v_mul_f32_e32 v27, v62, v92
	s_wait_loadcnt 0x0
	v_dual_mul_f32 v28, v61, v92 :: v_dual_mul_f32 v87, v64, v94
	v_mul_f32_e32 v88, v63, v94
	s_delay_alu instid0(VALU_DEP_3) | instskip(NEXT) | instid1(VALU_DEP_3)
	v_fma_f32 v27, v61, v91, -v27
	v_fmac_f32_e32 v28, v62, v91
	s_delay_alu instid0(VALU_DEP_4) | instskip(NEXT) | instid1(VALU_DEP_4)
	v_fma_f32 v87, v63, v93, -v87
	v_fmac_f32_e32 v88, v64, v93
	ds_store_2addr_b64 v32, v[25:26], v[30:31] offset1:224
	ds_store_2addr_b64 v29, v[27:28], v[87:88] offset0:16 offset1:240
	ds_store_b64 v65, v[97:98] offset:9856
	s_and_saveexec_b32 s2, vcc_lo
	s_cbranch_execz .LBB0_25
; %bb.24:
	s_wait_alu 0xfffe
	v_add_co_u32 v25, s0, s0, v65
	s_wait_alu 0xf1ff
	v_add_co_ci_u32_e64 v26, null, s1, 0, s0
	s_clause 0x1
	global_load_b64 v[27:28], v[25:26], off offset:5376
	global_load_b64 v[25:26], v[25:26], off offset:11648
	ds_load_b64 v[30:31], v65 offset:5376
	ds_load_b64 v[61:62], v65 offset:11648
	s_wait_loadcnt_dscnt 0x0
	v_dual_mul_f32 v32, v31, v28 :: v_dual_mul_f32 v87, v62, v26
	v_mul_f32_e32 v64, v30, v28
	v_mul_f32_e32 v28, v61, v26
	s_delay_alu instid0(VALU_DEP_3) | instskip(NEXT) | instid1(VALU_DEP_3)
	v_fma_f32 v63, v30, v27, -v32
	v_fmac_f32_e32 v64, v31, v27
	v_fma_f32 v27, v61, v25, -v87
	s_delay_alu instid0(VALU_DEP_4)
	v_fmac_f32_e32 v28, v62, v25
	ds_store_b64 v65, v[63:64] offset:5376
	ds_store_b64 v65, v[27:28] offset:11648
.LBB0_25:
	s_wait_alu 0xfffe
	s_or_b32 exec_lo, exec_lo, s2
	global_wb scope:SCOPE_SE
	s_wait_dscnt 0x0
	s_barrier_signal -1
	s_barrier_wait -1
	global_inv scope:SCOPE_SE
	ds_load_2addr_b64 v[25:28], v65 offset1:224
	ds_load_2addr_b64 v[29:32], v29 offset0:16 offset1:240
	ds_load_b64 v[61:62], v65 offset:3584
	ds_load_b64 v[63:64], v65 offset:9856
	v_lshlrev_b32_e32 v87, 3, v24
	v_lshlrev_b32_e32 v79, 3, v79
	s_and_saveexec_b32 s0, vcc_lo
	s_cbranch_execz .LBB0_27
; %bb.26:
	ds_load_b64 v[59:60], v65 offset:5376
	ds_load_b64 v[33:34], v65 offset:11648
.LBB0_27:
	s_wait_alu 0xfffe
	s_or_b32 exec_lo, exec_lo, s0
	s_wait_dscnt 0x2
	v_dual_sub_f32 v90, v25, v29 :: v_dual_sub_f32 v91, v26, v30
	v_dual_sub_f32 v31, v27, v31 :: v_dual_sub_f32 v32, v28, v32
	s_wait_dscnt 0x0
	v_dual_sub_f32 v63, v61, v63 :: v_dual_sub_f32 v64, v62, v64
	s_delay_alu instid0(VALU_DEP_3) | instskip(NEXT) | instid1(VALU_DEP_3)
	v_fma_f32 v89, v26, 2.0, -v91
	v_fma_f32 v29, v27, 2.0, -v31
	v_dual_sub_f32 v26, v59, v33 :: v_dual_sub_f32 v27, v60, v34
	v_fma_f32 v88, v25, 2.0, -v90
	v_fma_f32 v30, v28, 2.0, -v32
	;; [unrolled: 1-line block ×3, first 2 shown]
	s_delay_alu instid0(VALU_DEP_4)
	v_fma_f32 v24, v59, 2.0, -v26
	v_fma_f32 v25, v60, 2.0, -v27
	v_fma_f32 v62, v62, 2.0, -v64
	global_wb scope:SCOPE_SE
	s_barrier_signal -1
	s_barrier_wait -1
	global_inv scope:SCOPE_SE
	ds_store_b128 v70, v[88:91]
	ds_store_b128 v87, v[29:32]
	;; [unrolled: 1-line block ×3, first 2 shown]
	s_and_saveexec_b32 s0, vcc_lo
	s_cbranch_execz .LBB0_29
; %bb.28:
	ds_store_b128 v35, v[24:27]
.LBB0_29:
	s_wait_alu 0xfffe
	s_or_b32 exec_lo, exec_lo, s0
	v_add_nc_u32_e32 v32, 0x1800, v65
	global_wb scope:SCOPE_SE
	s_wait_dscnt 0x0
	s_barrier_signal -1
	s_barrier_wait -1
	global_inv scope:SCOPE_SE
	ds_load_2addr_b64 v[28:31], v65 offset1:224
	ds_load_2addr_b64 v[32:35], v32 offset0:16 offset1:240
	ds_load_b64 v[59:60], v65 offset:3584
	ds_load_b64 v[61:62], v65 offset:9856
	s_and_saveexec_b32 s0, vcc_lo
	s_cbranch_execz .LBB0_31
; %bb.30:
	ds_load_b64 v[24:25], v65 offset:5376
	ds_load_b64 v[26:27], v65 offset:11648
.LBB0_31:
	s_wait_alu 0xfffe
	s_or_b32 exec_lo, exec_lo, s0
	s_wait_dscnt 0x2
	v_mul_f32_e32 v70, v52, v35
	v_mul_f32_e32 v63, v52, v33
	s_wait_dscnt 0x0
	v_mul_f32_e32 v87, v52, v62
	v_mul_f32_e32 v64, v52, v32
	global_wb scope:SCOPE_SE
	v_fmac_f32_e32 v70, v51, v34
	v_fmac_f32_e32 v63, v51, v32
	;; [unrolled: 1-line block ×3, first 2 shown]
	v_fma_f32 v32, v51, v33, -v64
	v_mul_f32_e32 v79, v52, v34
	v_mul_f32_e32 v33, v52, v61
	v_sub_f32_e32 v61, v28, v63
	s_barrier_signal -1
	s_barrier_wait -1
	global_inv scope:SCOPE_SE
	v_fma_f32 v33, v51, v62, -v33
	v_sub_f32_e32 v62, v29, v32
	v_fma_f32 v34, v51, v35, -v79
	v_mul_f32_e32 v35, v52, v27
	v_mul_f32_e32 v52, v52, v26
	v_fma_f32 v28, v28, 2.0, -v61
	v_fma_f32 v29, v29, 2.0, -v62
	s_delay_alu instid0(VALU_DEP_4) | instskip(NEXT) | instid1(VALU_DEP_4)
	v_fmac_f32_e32 v35, v51, v26
	v_fma_f32 v32, v51, v27, -v52
	v_dual_sub_f32 v52, v60, v33 :: v_dual_sub_f32 v27, v31, v34
	v_sub_f32_e32 v26, v30, v70
	s_delay_alu instid0(VALU_DEP_3) | instskip(SKIP_1) | instid1(VALU_DEP_4)
	v_dual_sub_f32 v34, v24, v35 :: v_dual_sub_f32 v35, v25, v32
	v_sub_f32_e32 v51, v59, v87
	v_fma_f32 v31, v31, 2.0, -v27
	s_delay_alu instid0(VALU_DEP_4) | instskip(NEXT) | instid1(VALU_DEP_4)
	v_fma_f32 v30, v30, 2.0, -v26
	v_fma_f32 v32, v24, 2.0, -v34
	;; [unrolled: 1-line block ×5, first 2 shown]
	ds_store_2addr_b64 v74, v[28:29], v[61:62] offset1:2
	ds_store_2addr_b64 v73, v[30:31], v[26:27] offset1:2
	;; [unrolled: 1-line block ×3, first 2 shown]
	s_and_saveexec_b32 s0, vcc_lo
	s_cbranch_execz .LBB0_33
; %bb.32:
	v_and_or_b32 v24, 0x7fc, v67, v68
	s_delay_alu instid0(VALU_DEP_1)
	v_lshlrev_b32_e32 v24, 3, v24
	ds_store_2addr_b64 v24, v[32:33], v[34:35] offset1:2
.LBB0_33:
	s_wait_alu 0xfffe
	s_or_b32 exec_lo, exec_lo, s0
	v_add_nc_u32_e32 v28, 0x1800, v65
	global_wb scope:SCOPE_SE
	s_wait_dscnt 0x0
	s_barrier_signal -1
	s_barrier_wait -1
	global_inv scope:SCOPE_SE
	ds_load_2addr_b64 v[24:27], v65 offset1:224
	ds_load_2addr_b64 v[28:31], v28 offset0:16 offset1:240
	ds_load_b64 v[51:52], v65 offset:3584
	ds_load_b64 v[59:60], v65 offset:9856
	s_and_saveexec_b32 s0, vcc_lo
	s_cbranch_execz .LBB0_35
; %bb.34:
	ds_load_b64 v[32:33], v65 offset:5376
	ds_load_b64 v[34:35], v65 offset:11648
.LBB0_35:
	s_wait_alu 0xfffe
	s_or_b32 exec_lo, exec_lo, s0
	s_wait_dscnt 0x0
	v_mul_f32_e32 v68, v54, v60
	v_mul_f32_e32 v61, v54, v29
	global_wb scope:SCOPE_SE
	s_barrier_signal -1
	s_barrier_wait -1
	v_fmac_f32_e32 v68, v53, v59
	v_dual_mul_f32 v64, v54, v30 :: v_dual_fmac_f32 v61, v53, v28
	v_mul_f32_e32 v63, v54, v31
	v_mul_f32_e32 v62, v54, v28
	;; [unrolled: 1-line block ×3, first 2 shown]
	s_delay_alu instid0(VALU_DEP_4)
	v_fma_f32 v31, v53, v31, -v64
	v_mul_f32_e32 v59, v54, v35
	v_mul_f32_e32 v54, v54, v34
	global_inv scope:SCOPE_SE
	v_sub_f32_e32 v31, v27, v31
	v_fmac_f32_e32 v59, v53, v34
	v_fma_f32 v60, v53, v60, -v28
	v_dual_sub_f32 v28, v24, v61 :: v_dual_fmac_f32 v63, v53, v30
	v_fma_f32 v29, v53, v29, -v62
	v_fma_f32 v35, v53, v35, -v54
	v_dual_sub_f32 v34, v32, v59 :: v_dual_sub_f32 v53, v51, v68
	s_delay_alu instid0(VALU_DEP_3) | instskip(NEXT) | instid1(VALU_DEP_3)
	v_dual_sub_f32 v30, v26, v63 :: v_dual_sub_f32 v29, v25, v29
	v_dual_sub_f32 v35, v33, v35 :: v_dual_sub_f32 v54, v52, v60
	v_fma_f32 v24, v24, 2.0, -v28
	s_delay_alu instid0(VALU_DEP_4) | instskip(NEXT) | instid1(VALU_DEP_4)
	v_fma_f32 v32, v32, 2.0, -v34
	v_fma_f32 v25, v25, 2.0, -v29
	s_delay_alu instid0(VALU_DEP_4)
	v_fma_f32 v33, v33, 2.0, -v35
	v_fma_f32 v26, v26, 2.0, -v30
	;; [unrolled: 1-line block ×5, first 2 shown]
	ds_store_2addr_b64 v78, v[24:25], v[28:29] offset1:4
	ds_store_2addr_b64 v77, v[26:27], v[30:31] offset1:4
	;; [unrolled: 1-line block ×3, first 2 shown]
	s_and_saveexec_b32 s0, vcc_lo
	s_cbranch_execz .LBB0_37
; %bb.36:
	v_and_or_b32 v24, 0x7f8, v67, v69
	s_delay_alu instid0(VALU_DEP_1)
	v_lshlrev_b32_e32 v24, 3, v24
	ds_store_2addr_b64 v24, v[32:33], v[34:35] offset1:4
.LBB0_37:
	s_wait_alu 0xfffe
	s_or_b32 exec_lo, exec_lo, s0
	v_add_nc_u32_e32 v28, 0x1800, v65
	global_wb scope:SCOPE_SE
	s_wait_dscnt 0x0
	s_barrier_signal -1
	s_barrier_wait -1
	global_inv scope:SCOPE_SE
	ds_load_2addr_b64 v[24:27], v65 offset1:224
	ds_load_2addr_b64 v[28:31], v28 offset0:16 offset1:240
	ds_load_b64 v[51:52], v65 offset:3584
	ds_load_b64 v[53:54], v65 offset:9856
	s_and_saveexec_b32 s0, vcc_lo
	s_cbranch_execz .LBB0_39
; %bb.38:
	ds_load_b64 v[32:33], v65 offset:5376
	ds_load_b64 v[34:35], v65 offset:11648
.LBB0_39:
	s_wait_alu 0xfffe
	s_or_b32 exec_lo, exec_lo, s0
	s_wait_dscnt 0x2
	v_mul_f32_e32 v61, v58, v31
	v_mul_f32_e32 v60, v58, v28
	;; [unrolled: 1-line block ×3, first 2 shown]
	global_wb scope:SCOPE_SE
	s_wait_dscnt 0x0
	s_barrier_signal -1
	v_fmac_f32_e32 v61, v57, v30
	v_fma_f32 v29, v57, v29, -v60
	v_mul_f32_e32 v60, v58, v35
	s_barrier_wait -1
	global_inv scope:SCOPE_SE
	v_sub_f32_e32 v29, v25, v29
	v_fmac_f32_e32 v60, v57, v34
	v_dual_mul_f32 v62, v58, v30 :: v_dual_fmac_f32 v59, v57, v28
	v_mul_f32_e32 v63, v58, v54
	s_delay_alu instid0(VALU_DEP_4) | instskip(NEXT) | instid1(VALU_DEP_3)
	v_fma_f32 v25, v25, 2.0, -v29
	v_fma_f32 v31, v57, v31, -v62
	s_delay_alu instid0(VALU_DEP_1) | instskip(NEXT) | instid1(VALU_DEP_1)
	v_dual_mul_f32 v28, v58, v53 :: v_dual_sub_f32 v31, v27, v31
	v_fma_f32 v54, v57, v54, -v28
	v_dual_sub_f32 v28, v24, v59 :: v_dual_fmac_f32 v63, v57, v53
	v_dual_mul_f32 v53, v58, v34 :: v_dual_sub_f32 v34, v32, v60
	v_sub_f32_e32 v30, v26, v61
	s_delay_alu instid0(VALU_DEP_4) | instskip(NEXT) | instid1(VALU_DEP_4)
	v_sub_f32_e32 v54, v52, v54
	v_fma_f32 v24, v24, 2.0, -v28
	s_delay_alu instid0(VALU_DEP_4)
	v_fma_f32 v35, v57, v35, -v53
	v_sub_f32_e32 v53, v51, v63
	v_fma_f32 v32, v32, 2.0, -v34
	v_fma_f32 v26, v26, 2.0, -v30
	;; [unrolled: 1-line block ×3, first 2 shown]
	v_sub_f32_e32 v35, v33, v35
	v_fma_f32 v51, v51, 2.0, -v53
	v_fma_f32 v52, v52, 2.0, -v54
	ds_store_2addr_b64 v82, v[24:25], v[28:29] offset1:8
	ds_store_2addr_b64 v81, v[26:27], v[30:31] offset1:8
	;; [unrolled: 1-line block ×3, first 2 shown]
	v_fma_f32 v33, v33, 2.0, -v35
	s_and_saveexec_b32 s0, vcc_lo
	s_cbranch_execz .LBB0_41
; %bb.40:
	v_and_or_b32 v24, 0x7f0, v67, v71
	s_delay_alu instid0(VALU_DEP_1)
	v_lshlrev_b32_e32 v24, 3, v24
	ds_store_2addr_b64 v24, v[32:33], v[34:35] offset1:8
.LBB0_41:
	s_wait_alu 0xfffe
	s_or_b32 exec_lo, exec_lo, s0
	v_add_nc_u32_e32 v28, 0x1800, v65
	global_wb scope:SCOPE_SE
	s_wait_dscnt 0x0
	s_barrier_signal -1
	s_barrier_wait -1
	global_inv scope:SCOPE_SE
	ds_load_2addr_b64 v[24:27], v65 offset1:224
	ds_load_2addr_b64 v[28:31], v28 offset0:16 offset1:240
	ds_load_b64 v[51:52], v65 offset:3584
	ds_load_b64 v[53:54], v65 offset:9856
	s_and_saveexec_b32 s0, vcc_lo
	s_cbranch_execz .LBB0_43
; %bb.42:
	ds_load_b64 v[32:33], v65 offset:5376
	ds_load_b64 v[34:35], v65 offset:11648
.LBB0_43:
	s_wait_alu 0xfffe
	s_or_b32 exec_lo, exec_lo, s0
	s_wait_dscnt 0x2
	v_mul_f32_e32 v59, v56, v31
	v_mul_f32_e32 v58, v56, v28
	s_wait_dscnt 0x0
	v_mul_f32_e32 v61, v56, v54
	global_wb scope:SCOPE_SE
	s_barrier_signal -1
	v_fmac_f32_e32 v59, v55, v30
	v_mul_f32_e32 v57, v56, v29
	v_mul_f32_e32 v60, v56, v30
	v_fma_f32 v29, v55, v29, -v58
	s_barrier_wait -1
	s_delay_alu instid0(VALU_DEP_3) | instskip(NEXT) | instid1(VALU_DEP_3)
	v_dual_sub_f32 v30, v26, v59 :: v_dual_fmac_f32 v57, v55, v28
	v_fma_f32 v31, v55, v31, -v60
	v_mul_f32_e32 v62, v56, v53
	v_sub_f32_e32 v29, v25, v29
	s_delay_alu instid0(VALU_DEP_4) | instskip(NEXT) | instid1(VALU_DEP_4)
	v_fma_f32 v26, v26, 2.0, -v30
	v_dual_sub_f32 v28, v24, v57 :: v_dual_sub_f32 v31, v27, v31
	s_delay_alu instid0(VALU_DEP_4) | instskip(SKIP_2) | instid1(VALU_DEP_4)
	v_fma_f32 v54, v55, v54, -v62
	v_fmac_f32_e32 v61, v55, v53
	v_fma_f32 v25, v25, 2.0, -v29
	v_fma_f32 v24, v24, 2.0, -v28
	v_fma_f32 v27, v27, 2.0, -v31
	s_delay_alu instid0(VALU_DEP_4)
	v_dual_sub_f32 v54, v52, v54 :: v_dual_sub_f32 v53, v51, v61
	global_inv scope:SCOPE_SE
	v_fma_f32 v52, v52, 2.0, -v54
	v_fma_f32 v51, v51, 2.0, -v53
	ds_store_2addr_b64 v85, v[24:25], v[28:29] offset1:16
	ds_store_2addr_b64 v84, v[26:27], v[30:31] offset1:16
	;; [unrolled: 1-line block ×3, first 2 shown]
	s_and_saveexec_b32 s0, vcc_lo
	s_cbranch_execz .LBB0_45
; %bb.44:
	v_mul_f32_e32 v24, v56, v34
	v_and_or_b32 v28, 0x7e0, v67, v76
	s_delay_alu instid0(VALU_DEP_2) | instskip(SKIP_1) | instid1(VALU_DEP_3)
	v_fma_f32 v24, v55, v35, -v24
	v_mul_f32_e32 v26, v56, v35
	v_lshlrev_b32_e32 v28, 3, v28
	s_delay_alu instid0(VALU_DEP_2) | instskip(NEXT) | instid1(VALU_DEP_1)
	v_dual_sub_f32 v25, v33, v24 :: v_dual_fmac_f32 v26, v55, v34
	v_fma_f32 v27, v33, 2.0, -v25
	s_delay_alu instid0(VALU_DEP_2) | instskip(NEXT) | instid1(VALU_DEP_1)
	v_sub_f32_e32 v24, v32, v26
	v_fma_f32 v26, v32, 2.0, -v24
	ds_store_2addr_b64 v28, v[26:27], v[24:25] offset1:16
.LBB0_45:
	s_wait_alu 0xfffe
	s_or_b32 exec_lo, exec_lo, s0
	global_wb scope:SCOPE_SE
	s_wait_dscnt 0x0
	s_barrier_signal -1
	s_barrier_wait -1
	global_inv scope:SCOPE_SE
	ds_load_2addr_b64 v[24:27], v65 offset1:224
	ds_load_b64 v[51:52], v65 offset:10752
	v_add_nc_u32_e32 v53, 0xe00, v65
	v_add_nc_u32_e32 v54, 0x1c00, v65
	s_mov_b32 s2, 0xa72f0539
	s_mov_b32 s3, 0x3f44e5e0
	s_wait_dscnt 0x0
	v_dual_mul_f32 v55, v9, v27 :: v_dual_mul_f32 v56, v3, v52
	ds_load_2addr_b64 v[28:31], v53 offset1:224
	ds_load_2addr_b64 v[32:35], v54 offset1:224
	v_mul_f32_e32 v9, v9, v26
	global_wb scope:SCOPE_SE
	s_wait_dscnt 0x0
	v_dual_fmac_f32 v55, v8, v26 :: v_dual_fmac_f32 v56, v2, v51
	s_barrier_signal -1
	v_fma_f32 v8, v8, v27, -v9
	s_barrier_wait -1
	global_inv scope:SCOPE_SE
	v_mul_f32_e32 v26, v5, v31
	v_mul_f32_e32 v57, v1, v35
	;; [unrolled: 1-line block ×3, first 2 shown]
	s_delay_alu instid0(VALU_DEP_3) | instskip(NEXT) | instid1(VALU_DEP_3)
	v_dual_mul_f32 v3, v3, v51 :: v_dual_fmac_f32 v26, v4, v30
	v_fmac_f32_e32 v57, v0, v34
	s_delay_alu instid0(VALU_DEP_3) | instskip(SKIP_1) | instid1(VALU_DEP_4)
	v_fma_f32 v0, v0, v35, -v1
	v_mul_f32_e32 v5, v5, v30
	v_fma_f32 v2, v2, v52, -v3
	v_mul_f32_e32 v9, v11, v29
	v_mul_f32_e32 v11, v11, v28
	v_add_f32_e32 v1, v55, v56
	v_fma_f32 v4, v4, v31, -v5
	v_mul_f32_e32 v27, v7, v33
	v_mul_f32_e32 v7, v7, v32
	s_delay_alu instid0(VALU_DEP_2) | instskip(NEXT) | instid1(VALU_DEP_2)
	v_fmac_f32_e32 v27, v6, v32
	v_fma_f32 v5, v6, v33, -v7
	v_add_f32_e32 v6, v8, v2
	v_sub_f32_e32 v2, v8, v2
	v_fma_f32 v3, v10, v29, -v11
	v_fmac_f32_e32 v9, v10, v28
	v_dual_add_f32 v11, v4, v5 :: v_dual_sub_f32 v4, v5, v4
	s_delay_alu instid0(VALU_DEP_3) | instskip(SKIP_2) | instid1(VALU_DEP_3)
	v_add_f32_e32 v10, v3, v0
	v_dual_sub_f32 v0, v3, v0 :: v_dual_add_f32 v3, v26, v27
	v_sub_f32_e32 v26, v27, v26
	v_add_f32_e32 v27, v10, v6
	v_sub_f32_e32 v29, v10, v6
	v_sub_f32_e32 v10, v11, v10
	;; [unrolled: 1-line block ×3, first 2 shown]
	v_add_f32_e32 v8, v9, v57
	v_dual_sub_f32 v9, v9, v57 :: v_dual_sub_f32 v6, v6, v11
	v_add_f32_e32 v31, v4, v0
	v_sub_f32_e32 v33, v4, v0
	v_sub_f32_e32 v4, v2, v4
	s_delay_alu instid0(VALU_DEP_4) | instskip(SKIP_3) | instid1(VALU_DEP_3)
	v_sub_f32_e32 v32, v26, v9
	v_dual_mul_f32 v6, 0x3f4a47b2, v6 :: v_dual_add_f32 v5, v8, v1
	v_sub_f32_e32 v28, v8, v1
	v_sub_f32_e32 v8, v3, v8
	v_add_f32_e32 v3, v3, v5
	v_add_f32_e32 v5, v11, v27
	v_dual_mul_f32 v27, 0x3d64c772, v10 :: v_dual_fmamk_f32 v10, v10, 0x3d64c772, v6
	v_sub_f32_e32 v7, v55, v56
	v_sub_f32_e32 v11, v0, v2
	v_add_f32_e32 v0, v24, v3
	v_dual_mul_f32 v24, 0x3f4a47b2, v30 :: v_dual_add_f32 v1, v26, v9
	v_add_f32_e32 v2, v31, v2
	v_dual_sub_f32 v26, v7, v26 :: v_dual_sub_f32 v9, v9, v7
	s_delay_alu instid0(VALU_DEP_3)
	v_dual_mul_f32 v30, 0x3f08b237, v32 :: v_dual_add_f32 v7, v1, v7
	v_fmamk_f32 v3, v3, 0xbf955555, v0
	v_add_f32_e32 v1, v25, v5
	v_dual_mul_f32 v25, 0x3d64c772, v8 :: v_dual_fmamk_f32 v8, v8, 0x3d64c772, v24
	v_fma_f32 v24, 0xbf3bfb3b, v28, -v24
	v_mul_f32_e32 v32, 0xbf5ff5aa, v9
	v_fma_f32 v27, 0x3f3bfb3b, v29, -v27
	s_delay_alu instid0(VALU_DEP_4)
	v_fma_f32 v25, 0x3f3bfb3b, v28, -v25
	v_fmamk_f32 v28, v26, 0xbeae86e6, v30
	v_dual_add_f32 v24, v24, v3 :: v_dual_fmamk_f32 v5, v5, 0xbf955555, v1
	v_mul_f32_e32 v31, 0x3f08b237, v33
	v_fma_f32 v26, 0x3eae86e6, v26, -v32
	v_fma_f32 v9, 0xbf5ff5aa, v9, -v30
	;; [unrolled: 1-line block ×3, first 2 shown]
	v_dual_add_f32 v32, v10, v5 :: v_dual_mul_f32 v33, 0xbf5ff5aa, v11
	v_dual_add_f32 v10, v27, v5 :: v_dual_fmamk_f32 v29, v4, 0xbeae86e6, v31
	v_fmac_f32_e32 v28, 0xbee1c552, v7
	s_delay_alu instid0(VALU_DEP_3) | instskip(SKIP_1) | instid1(VALU_DEP_4)
	v_fma_f32 v30, 0x3eae86e6, v4, -v33
	v_fmac_f32_e32 v9, 0xbee1c552, v7
	v_fmac_f32_e32 v29, 0xbee1c552, v2
	s_delay_alu instid0(VALU_DEP_3) | instskip(NEXT) | instid1(VALU_DEP_1)
	v_fmac_f32_e32 v30, 0xbee1c552, v2
	v_add_f32_e32 v4, v30, v24
	v_fma_f32 v11, 0xbf5ff5aa, v11, -v31
	v_add_f32_e32 v31, v8, v3
	v_add_f32_e32 v8, v25, v3
	v_dual_fmac_f32 v26, 0xbee1c552, v7 :: v_dual_add_f32 v7, v9, v10
	s_delay_alu instid0(VALU_DEP_4) | instskip(SKIP_3) | instid1(VALU_DEP_2)
	v_fmac_f32_e32 v11, 0xbee1c552, v2
	v_dual_sub_f32 v9, v10, v9 :: v_dual_sub_f32 v10, v24, v30
	v_dual_add_f32 v25, v6, v5 :: v_dual_add_f32 v2, v29, v31
	v_dual_sub_f32 v3, v32, v28 :: v_dual_sub_f32 v24, v31, v29
	v_dual_sub_f32 v6, v8, v11 :: v_dual_sub_f32 v5, v25, v26
	v_dual_add_f32 v8, v11, v8 :: v_dual_add_f32 v11, v26, v25
	v_add_f32_e32 v25, v28, v32
	ds_store_2addr_b64 v86, v[0:1], v[2:3] offset1:32
	ds_store_2addr_b64 v86, v[4:5], v[6:7] offset0:64 offset1:96
	ds_store_2addr_b64 v86, v[8:9], v[10:11] offset0:128 offset1:160
	ds_store_b64 v86, v[24:25] offset:1536
	global_wb scope:SCOPE_SE
	s_wait_dscnt 0x0
	s_barrier_signal -1
	s_barrier_wait -1
	global_inv scope:SCOPE_SE
	ds_load_2addr_b64 v[0:3], v65 offset1:224
	ds_load_2addr_b64 v[4:7], v53 offset1:224
	ds_load_2addr_b64 v[8:11], v54 offset1:224
	ds_load_b64 v[24:25], v65 offset:10752
	s_wait_dscnt 0x3
	v_mul_f32_e32 v26, v21, v3
	v_mul_f32_e32 v21, v21, v2
	s_delay_alu instid0(VALU_DEP_2) | instskip(NEXT) | instid1(VALU_DEP_2)
	v_fmac_f32_e32 v26, v20, v2
	v_fma_f32 v2, v20, v3, -v21
	s_wait_dscnt 0x2
	v_mul_f32_e32 v21, v17, v7
	v_dual_mul_f32 v17, v17, v6 :: v_dual_mul_f32 v20, v23, v4
	s_wait_dscnt 0x0
	s_delay_alu instid0(VALU_DEP_2) | instskip(NEXT) | instid1(VALU_DEP_1)
	v_dual_fmac_f32 v21, v16, v6 :: v_dual_mul_f32 v6, v15, v25
	v_dual_fmac_f32 v6, v14, v24 :: v_dual_mul_f32 v3, v23, v5
	v_mul_f32_e32 v23, v19, v9
	s_delay_alu instid0(VALU_DEP_2) | instskip(SKIP_2) | instid1(VALU_DEP_4)
	v_fmac_f32_e32 v3, v22, v4
	v_fma_f32 v4, v22, v5, -v20
	v_fma_f32 v5, v16, v7, -v17
	v_fmac_f32_e32 v23, v18, v8
	v_mul_f32_e32 v7, v15, v24
	v_dual_mul_f32 v8, v19, v8 :: v_dual_mul_f32 v15, v13, v11
	v_mul_f32_e32 v13, v13, v10
	s_delay_alu instid0(VALU_DEP_3) | instskip(NEXT) | instid1(VALU_DEP_3)
	v_fma_f32 v7, v14, v25, -v7
	v_fma_f32 v8, v18, v9, -v8
	s_delay_alu instid0(VALU_DEP_4) | instskip(NEXT) | instid1(VALU_DEP_4)
	v_fmac_f32_e32 v15, v12, v10
	v_fma_f32 v9, v12, v11, -v13
	v_add_f32_e32 v10, v26, v6
	s_delay_alu instid0(VALU_DEP_4) | instskip(SKIP_1) | instid1(VALU_DEP_4)
	v_dual_sub_f32 v6, v26, v6 :: v_dual_add_f32 v13, v5, v8
	v_sub_f32_e32 v5, v8, v5
	v_add_f32_e32 v12, v4, v9
	v_dual_sub_f32 v4, v4, v9 :: v_dual_add_f32 v9, v21, v23
	v_mad_co_u64_u32 v[24:25], null, s6, v36, 0
	v_mad_co_u64_u32 v[26:27], null, s4, v66, 0
	s_delay_alu instid0(VALU_DEP_3) | instskip(SKIP_4) | instid1(VALU_DEP_2)
	v_add_f32_e32 v19, v5, v4
	v_add_f32_e32 v11, v2, v7
	v_sub_f32_e32 v2, v2, v7
	v_add_f32_e32 v7, v3, v15
	v_mad_co_u64_u32 v[28:29], null, s7, v36, v[25:26]
	v_add_f32_e32 v8, v7, v10
	v_sub_f32_e32 v16, v7, v10
	s_delay_alu instid0(VALU_DEP_2) | instskip(NEXT) | instid1(VALU_DEP_4)
	v_dual_add_f32 v8, v9, v8 :: v_dual_sub_f32 v3, v3, v15
	v_mov_b32_e32 v25, v28
	v_mad_co_u64_u32 v[27:28], null, s5, v66, v[27:28]
	s_delay_alu instid0(VALU_DEP_3) | instskip(SKIP_3) | instid1(VALU_DEP_4)
	v_add_f32_e32 v0, v0, v8
	v_sub_f32_e32 v10, v10, v9
	v_sub_f32_e32 v14, v23, v21
	v_lshlrev_b64_e32 v[24:25], 3, v[24:25]
	v_fmamk_f32 v8, v8, 0xbf955555, v0
	s_delay_alu instid0(VALU_DEP_4) | instskip(NEXT) | instid1(VALU_DEP_4)
	v_mul_f32_e32 v10, 0x3f4a47b2, v10
	v_add_f32_e32 v18, v14, v3
	v_sub_f32_e32 v20, v14, v3
	v_dual_sub_f32 v14, v6, v14 :: v_dual_sub_f32 v7, v9, v7
	v_sub_f32_e32 v3, v3, v6
	s_delay_alu instid0(VALU_DEP_4) | instskip(NEXT) | instid1(VALU_DEP_4)
	v_add_f32_e32 v6, v18, v6
	v_mul_f32_e32 v18, 0x3f08b237, v20
	v_sub_f32_e32 v21, v5, v4
	v_dual_sub_f32 v5, v2, v5 :: v_dual_sub_f32 v4, v4, v2
	v_dual_add_f32 v2, v19, v2 :: v_dual_add_f32 v15, v12, v11
	v_sub_f32_e32 v17, v12, v11
	v_dual_sub_f32 v11, v11, v13 :: v_dual_sub_f32 v12, v13, v12
	v_add_co_u32 v24, s0, s8, v24
	s_delay_alu instid0(VALU_DEP_4)
	v_add_f32_e32 v9, v13, v15
	v_mul_f32_e32 v13, 0x3d64c772, v7
	v_fmamk_f32 v7, v7, 0x3d64c772, v10
	v_fma_f32 v10, 0xbf3bfb3b, v16, -v10
	v_mul_f32_e32 v15, 0x3d64c772, v12
	s_wait_alu 0xf1ff
	v_add_co_ci_u32_e64 v25, s0, s9, v25, s0
	v_fma_f32 v13, 0x3f3bfb3b, v16, -v13
	v_fmamk_f32 v16, v14, 0xbeae86e6, v18
	v_add_f32_e32 v10, v10, v8
	v_fma_f32 v18, 0xbf5ff5aa, v3, -v18
	v_mul_f32_e32 v20, 0xbf5ff5aa, v3
	v_mul_f32_e32 v11, 0x3f4a47b2, v11
	v_fmac_f32_e32 v16, 0xbee1c552, v6
	s_movk_i32 s8, 0xfdd0
	v_dual_fmac_f32 v18, 0xbee1c552, v6 :: v_dual_add_f32 v1, v1, v9
	s_delay_alu instid0(VALU_DEP_3) | instskip(SKIP_2) | instid1(VALU_DEP_3)
	v_fmamk_f32 v12, v12, 0x3d64c772, v11
	v_fma_f32 v14, 0x3eae86e6, v14, -v20
	s_mov_b32 s9, -1
	v_fmamk_f32 v9, v9, 0xbf955555, v1
	s_delay_alu instid0(VALU_DEP_2) | instskip(NEXT) | instid1(VALU_DEP_2)
	v_fmac_f32_e32 v14, 0xbee1c552, v6
	v_add_f32_e32 v22, v12, v9
	v_mul_f32_e32 v19, 0x3f08b237, v21
	v_mul_f32_e32 v21, 0xbf5ff5aa, v4
	v_add_f32_e32 v12, v13, v8
	v_fma_f32 v15, 0x3f3bfb3b, v17, -v15
	v_fma_f32 v11, 0xbf3bfb3b, v17, -v11
	v_fmamk_f32 v17, v5, 0xbeae86e6, v19
	v_fma_f32 v19, 0xbf5ff5aa, v4, -v19
	v_fma_f32 v20, 0x3eae86e6, v5, -v21
	v_add_f32_e32 v21, v7, v8
	v_sub_f32_e32 v3, v22, v16
	v_fmac_f32_e32 v17, 0xbee1c552, v2
	v_fmac_f32_e32 v19, 0xbee1c552, v2
	;; [unrolled: 1-line block ×3, first 2 shown]
	s_delay_alu instid0(VALU_DEP_3) | instskip(NEXT) | instid1(VALU_DEP_3)
	v_add_f32_e32 v2, v17, v21
	v_add_f32_e32 v8, v19, v12
	;; [unrolled: 1-line block ×3, first 2 shown]
	s_delay_alu instid0(VALU_DEP_4) | instskip(SKIP_2) | instid1(VALU_DEP_4)
	v_dual_add_f32 v11, v11, v9 :: v_dual_add_f32 v4, v20, v10
	v_sub_f32_e32 v6, v12, v19
	v_sub_f32_e32 v10, v10, v20
	v_add_f32_e32 v7, v18, v13
	s_delay_alu instid0(VALU_DEP_4)
	v_sub_f32_e32 v5, v11, v14
	v_sub_f32_e32 v9, v13, v18
	v_dual_add_f32 v11, v14, v11 :: v_dual_sub_f32 v12, v21, v17
	v_add_f32_e32 v13, v16, v22
	ds_store_2addr_b64 v65, v[0:1], v[2:3] offset1:224
	ds_store_2addr_b64 v53, v[4:5], v[6:7] offset1:224
	;; [unrolled: 1-line block ×3, first 2 shown]
	ds_store_b64 v65, v[12:13] offset:10752
	v_add_nc_u32_e32 v4, 0x1800, v65
	global_wb scope:SCOPE_SE
	s_wait_dscnt 0x0
	s_barrier_signal -1
	s_barrier_wait -1
	global_inv scope:SCOPE_SE
	ds_load_2addr_b64 v[0:3], v65 offset1:224
	ds_load_2addr_b64 v[4:7], v4 offset0:16 offset1:240
	ds_load_b64 v[10:11], v65 offset:9856
	s_wait_dscnt 0x2
	v_mul_f32_e32 v8, v50, v1
	s_wait_dscnt 0x1
	v_dual_mul_f32 v9, v50, v0 :: v_dual_mul_f32 v18, v44, v7
	v_mul_f32_e32 v14, v40, v5
	s_wait_dscnt 0x0
	v_mul_f32_e32 v22, v48, v11
	v_fmac_f32_e32 v8, v49, v0
	v_dual_mul_f32 v15, v40, v4 :: v_dual_fmac_f32 v18, v43, v6
	v_mul_f32_e32 v6, v44, v6
	s_delay_alu instid0(VALU_DEP_4)
	v_fmac_f32_e32 v22, v47, v10
	v_fma_f32 v12, v49, v1, -v9
	ds_load_b64 v[0:1], v65 offset:3584
	v_mul_f32_e32 v16, v42, v3
	v_mul_f32_e32 v17, v42, v2
	v_cvt_f64_f32_e32 v[8:9], v8
	v_cvt_f64_f32_e32 v[12:13], v12
	v_dual_mul_f32 v23, v48, v10 :: v_dual_fmac_f32 v14, v39, v4
	v_fma_f32 v4, v39, v5, -v15
	v_fmac_f32_e32 v16, v41, v2
	v_fma_f32 v17, v41, v3, -v17
	v_fma_f32 v6, v43, v7, -v6
	;; [unrolled: 1-line block ×3, first 2 shown]
	v_cvt_f64_f32_e32 v[2:3], v14
	v_cvt_f64_f32_e32 v[4:5], v4
	;; [unrolled: 1-line block ×5, first 2 shown]
	s_wait_dscnt 0x0
	v_mul_f32_e32 v20, v46, v1
	v_mul_f32_e32 v21, v46, v0
	s_delay_alu instid0(VALU_DEP_2) | instskip(NEXT) | instid1(VALU_DEP_2)
	v_fmac_f32_e32 v20, v45, v0
	v_fma_f32 v21, v45, v1, -v21
	v_cvt_f64_f32_e32 v[0:1], v6
	s_delay_alu instid0(VALU_DEP_3) | instskip(NEXT) | instid1(VALU_DEP_3)
	v_cvt_f64_f32_e32 v[6:7], v20
	v_cvt_f64_f32_e32 v[10:11], v21
	;; [unrolled: 1-line block ×4, first 2 shown]
	s_wait_alu 0xfffe
	v_mul_f64_e32 v[8:9], s[2:3], v[8:9]
	v_mul_f64_e32 v[12:13], s[2:3], v[12:13]
	;; [unrolled: 1-line block ×12, first 2 shown]
	v_cvt_f32_f64_e32 v8, v[8:9]
	v_cvt_f32_f64_e32 v9, v[12:13]
	v_lshlrev_b64_e32 v[12:13], 3, v[26:27]
	v_cvt_f32_f64_e32 v2, v[2:3]
	v_cvt_f32_f64_e32 v3, v[4:5]
	;; [unrolled: 1-line block ×6, first 2 shown]
	v_add_co_u32 v0, s0, v24, v12
	v_cvt_f32_f64_e32 v6, v[6:7]
	v_cvt_f32_f64_e32 v7, v[10:11]
	;; [unrolled: 1-line block ×4, first 2 shown]
	s_wait_alu 0xf1ff
	v_add_co_ci_u32_e64 v1, s0, v25, v13, s0
	s_mul_u64 s[0:1], s[4:5], 0x310
	s_mul_u64 s[4:5], s[4:5], s[8:9]
	s_wait_alu 0xfffe
	s_lshl_b64 s[6:7], s[0:1], 3
	s_lshl_b64 s[4:5], s[4:5], 3
	s_wait_alu 0xfffe
	v_add_co_u32 v12, s0, v0, s6
	s_wait_alu 0xf1ff
	v_add_co_ci_u32_e64 v13, s0, s7, v1, s0
	global_store_b64 v[0:1], v[8:9], off
	v_add_co_u32 v16, s0, v12, s4
	s_wait_alu 0xf1ff
	v_add_co_ci_u32_e64 v17, s0, s5, v13, s0
	s_delay_alu instid0(VALU_DEP_2) | instskip(SKIP_1) | instid1(VALU_DEP_2)
	v_add_co_u32 v18, s0, v16, s6
	s_wait_alu 0xf1ff
	v_add_co_ci_u32_e64 v19, s0, s7, v17, s0
	s_delay_alu instid0(VALU_DEP_2) | instskip(SKIP_1) | instid1(VALU_DEP_2)
	;; [unrolled: 4-line block ×3, first 2 shown]
	v_add_co_u32 v0, s0, v20, s6
	s_wait_alu 0xf1ff
	v_add_co_ci_u32_e64 v1, s0, s7, v21, s0
	s_clause 0x3
	global_store_b64 v[12:13], v[2:3], off
	global_store_b64 v[16:17], v[4:5], off
	;; [unrolled: 1-line block ×5, first 2 shown]
	s_and_b32 exec_lo, exec_lo, vcc_lo
	s_cbranch_execz .LBB0_47
; %bb.46:
	s_clause 0x1
	global_load_b64 v[2:3], v[37:38], off offset:5376
	global_load_b64 v[4:5], v[37:38], off offset:11648
	ds_load_b64 v[6:7], v65 offset:5376
	ds_load_b64 v[8:9], v65 offset:11648
	v_add_co_u32 v0, vcc_lo, v0, s4
	s_wait_alu 0xfffd
	v_add_co_ci_u32_e32 v1, vcc_lo, s5, v1, vcc_lo
	s_wait_loadcnt_dscnt 0x0
	v_dual_mul_f32 v10, v7, v3 :: v_dual_mul_f32 v11, v9, v5
	v_mul_f32_e32 v3, v6, v3
	s_delay_alu instid0(VALU_DEP_2) | instskip(NEXT) | instid1(VALU_DEP_3)
	v_dual_mul_f32 v5, v8, v5 :: v_dual_fmac_f32 v10, v6, v2
	v_fmac_f32_e32 v11, v8, v4
	s_delay_alu instid0(VALU_DEP_3) | instskip(NEXT) | instid1(VALU_DEP_3)
	v_fma_f32 v6, v2, v7, -v3
	v_fma_f32 v8, v4, v9, -v5
	s_delay_alu instid0(VALU_DEP_4) | instskip(NEXT) | instid1(VALU_DEP_3)
	v_cvt_f64_f32_e32 v[2:3], v10
	v_cvt_f64_f32_e32 v[4:5], v6
	;; [unrolled: 1-line block ×3, first 2 shown]
	s_delay_alu instid0(VALU_DEP_4) | instskip(NEXT) | instid1(VALU_DEP_4)
	v_cvt_f64_f32_e32 v[8:9], v8
	v_mul_f64_e32 v[2:3], s[2:3], v[2:3]
	s_delay_alu instid0(VALU_DEP_4) | instskip(NEXT) | instid1(VALU_DEP_4)
	v_mul_f64_e32 v[4:5], s[2:3], v[4:5]
	v_mul_f64_e32 v[6:7], s[2:3], v[6:7]
	s_delay_alu instid0(VALU_DEP_4) | instskip(NEXT) | instid1(VALU_DEP_4)
	v_mul_f64_e32 v[8:9], s[2:3], v[8:9]
	v_cvt_f32_f64_e32 v2, v[2:3]
	s_delay_alu instid0(VALU_DEP_4) | instskip(NEXT) | instid1(VALU_DEP_4)
	v_cvt_f32_f64_e32 v3, v[4:5]
	v_cvt_f32_f64_e32 v4, v[6:7]
	s_delay_alu instid0(VALU_DEP_4)
	v_cvt_f32_f64_e32 v5, v[8:9]
	v_add_co_u32 v6, vcc_lo, v0, s6
	s_wait_alu 0xfffd
	v_add_co_ci_u32_e32 v7, vcc_lo, s7, v1, vcc_lo
	global_store_b64 v[0:1], v[2:3], off
	global_store_b64 v[6:7], v[4:5], off
.LBB0_47:
	s_nop 0
	s_sendmsg sendmsg(MSG_DEALLOC_VGPRS)
	s_endpgm
	.section	.rodata,"a",@progbits
	.p2align	6, 0x0
	.amdhsa_kernel bluestein_single_fwd_len1568_dim1_sp_op_CI_CI
		.amdhsa_group_segment_fixed_size 12544
		.amdhsa_private_segment_fixed_size 0
		.amdhsa_kernarg_size 104
		.amdhsa_user_sgpr_count 2
		.amdhsa_user_sgpr_dispatch_ptr 0
		.amdhsa_user_sgpr_queue_ptr 0
		.amdhsa_user_sgpr_kernarg_segment_ptr 1
		.amdhsa_user_sgpr_dispatch_id 0
		.amdhsa_user_sgpr_private_segment_size 0
		.amdhsa_wavefront_size32 1
		.amdhsa_uses_dynamic_stack 0
		.amdhsa_enable_private_segment 0
		.amdhsa_system_sgpr_workgroup_id_x 1
		.amdhsa_system_sgpr_workgroup_id_y 0
		.amdhsa_system_sgpr_workgroup_id_z 0
		.amdhsa_system_sgpr_workgroup_info 0
		.amdhsa_system_vgpr_workitem_id 0
		.amdhsa_next_free_vgpr 101
		.amdhsa_next_free_sgpr 18
		.amdhsa_reserve_vcc 1
		.amdhsa_float_round_mode_32 0
		.amdhsa_float_round_mode_16_64 0
		.amdhsa_float_denorm_mode_32 3
		.amdhsa_float_denorm_mode_16_64 3
		.amdhsa_fp16_overflow 0
		.amdhsa_workgroup_processor_mode 1
		.amdhsa_memory_ordered 1
		.amdhsa_forward_progress 0
		.amdhsa_round_robin_scheduling 0
		.amdhsa_exception_fp_ieee_invalid_op 0
		.amdhsa_exception_fp_denorm_src 0
		.amdhsa_exception_fp_ieee_div_zero 0
		.amdhsa_exception_fp_ieee_overflow 0
		.amdhsa_exception_fp_ieee_underflow 0
		.amdhsa_exception_fp_ieee_inexact 0
		.amdhsa_exception_int_div_zero 0
	.end_amdhsa_kernel
	.text
.Lfunc_end0:
	.size	bluestein_single_fwd_len1568_dim1_sp_op_CI_CI, .Lfunc_end0-bluestein_single_fwd_len1568_dim1_sp_op_CI_CI
                                        ; -- End function
	.section	.AMDGPU.csdata,"",@progbits
; Kernel info:
; codeLenInByte = 9728
; NumSgprs: 20
; NumVgprs: 101
; ScratchSize: 0
; MemoryBound: 0
; FloatMode: 240
; IeeeMode: 1
; LDSByteSize: 12544 bytes/workgroup (compile time only)
; SGPRBlocks: 2
; VGPRBlocks: 12
; NumSGPRsForWavesPerEU: 20
; NumVGPRsForWavesPerEU: 101
; Occupancy: 12
; WaveLimiterHint : 1
; COMPUTE_PGM_RSRC2:SCRATCH_EN: 0
; COMPUTE_PGM_RSRC2:USER_SGPR: 2
; COMPUTE_PGM_RSRC2:TRAP_HANDLER: 0
; COMPUTE_PGM_RSRC2:TGID_X_EN: 1
; COMPUTE_PGM_RSRC2:TGID_Y_EN: 0
; COMPUTE_PGM_RSRC2:TGID_Z_EN: 0
; COMPUTE_PGM_RSRC2:TIDIG_COMP_CNT: 0
	.text
	.p2alignl 7, 3214868480
	.fill 96, 4, 3214868480
	.type	__hip_cuid_a669399eb14a58a2,@object ; @__hip_cuid_a669399eb14a58a2
	.section	.bss,"aw",@nobits
	.globl	__hip_cuid_a669399eb14a58a2
__hip_cuid_a669399eb14a58a2:
	.byte	0                               ; 0x0
	.size	__hip_cuid_a669399eb14a58a2, 1

	.ident	"AMD clang version 19.0.0git (https://github.com/RadeonOpenCompute/llvm-project roc-6.4.0 25133 c7fe45cf4b819c5991fe208aaa96edf142730f1d)"
	.section	".note.GNU-stack","",@progbits
	.addrsig
	.addrsig_sym __hip_cuid_a669399eb14a58a2
	.amdgpu_metadata
---
amdhsa.kernels:
  - .args:
      - .actual_access:  read_only
        .address_space:  global
        .offset:         0
        .size:           8
        .value_kind:     global_buffer
      - .actual_access:  read_only
        .address_space:  global
        .offset:         8
        .size:           8
        .value_kind:     global_buffer
      - .actual_access:  read_only
        .address_space:  global
        .offset:         16
        .size:           8
        .value_kind:     global_buffer
      - .actual_access:  read_only
        .address_space:  global
        .offset:         24
        .size:           8
        .value_kind:     global_buffer
      - .actual_access:  read_only
        .address_space:  global
        .offset:         32
        .size:           8
        .value_kind:     global_buffer
      - .offset:         40
        .size:           8
        .value_kind:     by_value
      - .address_space:  global
        .offset:         48
        .size:           8
        .value_kind:     global_buffer
      - .address_space:  global
        .offset:         56
        .size:           8
        .value_kind:     global_buffer
      - .address_space:  global
        .offset:         64
        .size:           8
        .value_kind:     global_buffer
      - .address_space:  global
        .offset:         72
        .size:           8
        .value_kind:     global_buffer
      - .offset:         80
        .size:           4
        .value_kind:     by_value
      - .address_space:  global
        .offset:         88
        .size:           8
        .value_kind:     global_buffer
      - .address_space:  global
        .offset:         96
        .size:           8
        .value_kind:     global_buffer
    .group_segment_fixed_size: 12544
    .kernarg_segment_align: 8
    .kernarg_segment_size: 104
    .language:       OpenCL C
    .language_version:
      - 2
      - 0
    .max_flat_workgroup_size: 224
    .name:           bluestein_single_fwd_len1568_dim1_sp_op_CI_CI
    .private_segment_fixed_size: 0
    .sgpr_count:     20
    .sgpr_spill_count: 0
    .symbol:         bluestein_single_fwd_len1568_dim1_sp_op_CI_CI.kd
    .uniform_work_group_size: 1
    .uses_dynamic_stack: false
    .vgpr_count:     101
    .vgpr_spill_count: 0
    .wavefront_size: 32
    .workgroup_processor_mode: 1
amdhsa.target:   amdgcn-amd-amdhsa--gfx1201
amdhsa.version:
  - 1
  - 2
...

	.end_amdgpu_metadata
